;; amdgpu-corpus repo=ROCm/rocFFT kind=compiled arch=gfx1030 opt=O3
	.text
	.amdgcn_target "amdgcn-amd-amdhsa--gfx1030"
	.amdhsa_code_object_version 6
	.protected	fft_rtc_fwd_len1925_factors_7_11_5_5_wgs_55_tpt_55_halfLds_dp_ip_CI_unitstride_sbrr_dirReg ; -- Begin function fft_rtc_fwd_len1925_factors_7_11_5_5_wgs_55_tpt_55_halfLds_dp_ip_CI_unitstride_sbrr_dirReg
	.globl	fft_rtc_fwd_len1925_factors_7_11_5_5_wgs_55_tpt_55_halfLds_dp_ip_CI_unitstride_sbrr_dirReg
	.p2align	8
	.type	fft_rtc_fwd_len1925_factors_7_11_5_5_wgs_55_tpt_55_halfLds_dp_ip_CI_unitstride_sbrr_dirReg,@function
fft_rtc_fwd_len1925_factors_7_11_5_5_wgs_55_tpt_55_halfLds_dp_ip_CI_unitstride_sbrr_dirReg: ; @fft_rtc_fwd_len1925_factors_7_11_5_5_wgs_55_tpt_55_halfLds_dp_ip_CI_unitstride_sbrr_dirReg
; %bb.0:
	s_mov_b64 s[38:39], s[2:3]
	s_mov_b64 s[36:37], s[0:1]
	s_clause 0x2
	s_load_dwordx4 s[8:11], s[4:5], 0x0
	s_load_dwordx2 s[2:3], s[4:5], 0x50
	s_load_dwordx2 s[12:13], s[4:5], 0x18
	v_mul_u32_u24_e32 v1, 0x4a8, v0
	v_mov_b32_e32 v3, 0
	s_add_u32 s36, s36, s7
	s_addc_u32 s37, s37, 0
	v_add_nc_u32_sdwa v5, s6, v1 dst_sel:DWORD dst_unused:UNUSED_PAD src0_sel:DWORD src1_sel:WORD_1
	v_mov_b32_e32 v1, 0
	v_mov_b32_e32 v6, v3
	;; [unrolled: 1-line block ×3, first 2 shown]
	s_waitcnt lgkmcnt(0)
	v_cmp_lt_u64_e64 s0, s[10:11], 2
	s_and_b32 vcc_lo, exec_lo, s0
	s_cbranch_vccnz .LBB0_8
; %bb.1:
	s_load_dwordx2 s[0:1], s[4:5], 0x10
	v_mov_b32_e32 v1, 0
	s_add_u32 s6, s12, 8
	v_mov_b32_e32 v2, 0
	s_addc_u32 s7, s13, 0
	s_mov_b64 s[16:17], 1
	s_waitcnt lgkmcnt(0)
	s_add_u32 s14, s0, 8
	s_addc_u32 s15, s1, 0
.LBB0_2:                                ; =>This Inner Loop Header: Depth=1
	s_load_dwordx2 s[18:19], s[14:15], 0x0
                                        ; implicit-def: $vgpr7_vgpr8
	s_mov_b32 s0, exec_lo
	s_waitcnt lgkmcnt(0)
	v_or_b32_e32 v4, s19, v6
	v_cmpx_ne_u64_e32 0, v[3:4]
	s_xor_b32 s1, exec_lo, s0
	s_cbranch_execz .LBB0_4
; %bb.3:                                ;   in Loop: Header=BB0_2 Depth=1
	v_cvt_f32_u32_e32 v4, s18
	v_cvt_f32_u32_e32 v7, s19
	s_sub_u32 s0, 0, s18
	s_subb_u32 s20, 0, s19
	v_fmac_f32_e32 v4, 0x4f800000, v7
	v_rcp_f32_e32 v4, v4
	v_mul_f32_e32 v4, 0x5f7ffffc, v4
	v_mul_f32_e32 v7, 0x2f800000, v4
	v_trunc_f32_e32 v7, v7
	v_fmac_f32_e32 v4, 0xcf800000, v7
	v_cvt_u32_f32_e32 v7, v7
	v_cvt_u32_f32_e32 v4, v4
	v_mul_lo_u32 v8, s0, v7
	v_mul_hi_u32 v9, s0, v4
	v_mul_lo_u32 v10, s20, v4
	v_add_nc_u32_e32 v8, v9, v8
	v_mul_lo_u32 v9, s0, v4
	v_add_nc_u32_e32 v8, v8, v10
	v_mul_hi_u32 v10, v4, v9
	v_mul_lo_u32 v11, v4, v8
	v_mul_hi_u32 v12, v4, v8
	v_mul_hi_u32 v13, v7, v9
	v_mul_lo_u32 v9, v7, v9
	v_mul_hi_u32 v14, v7, v8
	v_mul_lo_u32 v8, v7, v8
	v_add_co_u32 v10, vcc_lo, v10, v11
	v_add_co_ci_u32_e32 v11, vcc_lo, 0, v12, vcc_lo
	v_add_co_u32 v9, vcc_lo, v10, v9
	v_add_co_ci_u32_e32 v9, vcc_lo, v11, v13, vcc_lo
	v_add_co_ci_u32_e32 v10, vcc_lo, 0, v14, vcc_lo
	v_add_co_u32 v8, vcc_lo, v9, v8
	v_add_co_ci_u32_e32 v9, vcc_lo, 0, v10, vcc_lo
	v_add_co_u32 v4, vcc_lo, v4, v8
	v_add_co_ci_u32_e32 v7, vcc_lo, v7, v9, vcc_lo
	v_mul_hi_u32 v8, s0, v4
	v_mul_lo_u32 v10, s20, v4
	v_mul_lo_u32 v9, s0, v7
	v_add_nc_u32_e32 v8, v8, v9
	v_mul_lo_u32 v9, s0, v4
	v_add_nc_u32_e32 v8, v8, v10
	v_mul_hi_u32 v10, v4, v9
	v_mul_lo_u32 v11, v4, v8
	v_mul_hi_u32 v12, v4, v8
	v_mul_hi_u32 v13, v7, v9
	v_mul_lo_u32 v9, v7, v9
	v_mul_hi_u32 v14, v7, v8
	v_mul_lo_u32 v8, v7, v8
	v_add_co_u32 v10, vcc_lo, v10, v11
	v_add_co_ci_u32_e32 v11, vcc_lo, 0, v12, vcc_lo
	v_add_co_u32 v9, vcc_lo, v10, v9
	v_add_co_ci_u32_e32 v9, vcc_lo, v11, v13, vcc_lo
	v_add_co_ci_u32_e32 v10, vcc_lo, 0, v14, vcc_lo
	v_add_co_u32 v8, vcc_lo, v9, v8
	v_add_co_ci_u32_e32 v9, vcc_lo, 0, v10, vcc_lo
	v_add_co_u32 v4, vcc_lo, v4, v8
	v_add_co_ci_u32_e32 v11, vcc_lo, v7, v9, vcc_lo
	v_mul_hi_u32 v13, v5, v4
	v_mad_u64_u32 v[9:10], null, v6, v4, 0
	v_mad_u64_u32 v[7:8], null, v5, v11, 0
	;; [unrolled: 1-line block ×3, first 2 shown]
	v_add_co_u32 v4, vcc_lo, v13, v7
	v_add_co_ci_u32_e32 v7, vcc_lo, 0, v8, vcc_lo
	v_add_co_u32 v4, vcc_lo, v4, v9
	v_add_co_ci_u32_e32 v4, vcc_lo, v7, v10, vcc_lo
	v_add_co_ci_u32_e32 v7, vcc_lo, 0, v12, vcc_lo
	v_add_co_u32 v4, vcc_lo, v4, v11
	v_add_co_ci_u32_e32 v9, vcc_lo, 0, v7, vcc_lo
	v_mul_lo_u32 v10, s19, v4
	v_mad_u64_u32 v[7:8], null, s18, v4, 0
	v_mul_lo_u32 v11, s18, v9
	v_sub_co_u32 v7, vcc_lo, v5, v7
	v_add3_u32 v8, v8, v11, v10
	v_sub_nc_u32_e32 v10, v6, v8
	v_subrev_co_ci_u32_e64 v10, s0, s19, v10, vcc_lo
	v_add_co_u32 v11, s0, v4, 2
	v_add_co_ci_u32_e64 v12, s0, 0, v9, s0
	v_sub_co_u32 v13, s0, v7, s18
	v_sub_co_ci_u32_e32 v8, vcc_lo, v6, v8, vcc_lo
	v_subrev_co_ci_u32_e64 v10, s0, 0, v10, s0
	v_cmp_le_u32_e32 vcc_lo, s18, v13
	v_cmp_eq_u32_e64 s0, s19, v8
	v_cndmask_b32_e64 v13, 0, -1, vcc_lo
	v_cmp_le_u32_e32 vcc_lo, s19, v10
	v_cndmask_b32_e64 v14, 0, -1, vcc_lo
	v_cmp_le_u32_e32 vcc_lo, s18, v7
	;; [unrolled: 2-line block ×3, first 2 shown]
	v_cndmask_b32_e64 v15, 0, -1, vcc_lo
	v_cmp_eq_u32_e32 vcc_lo, s19, v10
	v_cndmask_b32_e64 v7, v15, v7, s0
	v_cndmask_b32_e32 v10, v14, v13, vcc_lo
	v_add_co_u32 v13, vcc_lo, v4, 1
	v_add_co_ci_u32_e32 v14, vcc_lo, 0, v9, vcc_lo
	v_cmp_ne_u32_e32 vcc_lo, 0, v10
	v_cndmask_b32_e32 v8, v14, v12, vcc_lo
	v_cndmask_b32_e32 v10, v13, v11, vcc_lo
	v_cmp_ne_u32_e32 vcc_lo, 0, v7
	v_cndmask_b32_e32 v8, v9, v8, vcc_lo
	v_cndmask_b32_e32 v7, v4, v10, vcc_lo
.LBB0_4:                                ;   in Loop: Header=BB0_2 Depth=1
	s_andn2_saveexec_b32 s0, s1
	s_cbranch_execz .LBB0_6
; %bb.5:                                ;   in Loop: Header=BB0_2 Depth=1
	v_cvt_f32_u32_e32 v4, s18
	s_sub_i32 s1, 0, s18
	v_rcp_iflag_f32_e32 v4, v4
	v_mul_f32_e32 v4, 0x4f7ffffe, v4
	v_cvt_u32_f32_e32 v4, v4
	v_mul_lo_u32 v7, s1, v4
	v_mul_hi_u32 v7, v4, v7
	v_add_nc_u32_e32 v4, v4, v7
	v_mul_hi_u32 v4, v5, v4
	v_mul_lo_u32 v7, v4, s18
	v_add_nc_u32_e32 v8, 1, v4
	v_sub_nc_u32_e32 v7, v5, v7
	v_subrev_nc_u32_e32 v9, s18, v7
	v_cmp_le_u32_e32 vcc_lo, s18, v7
	v_cndmask_b32_e32 v7, v7, v9, vcc_lo
	v_cndmask_b32_e32 v4, v4, v8, vcc_lo
	v_cmp_le_u32_e32 vcc_lo, s18, v7
	v_add_nc_u32_e32 v8, 1, v4
	v_cndmask_b32_e32 v7, v4, v8, vcc_lo
	v_mov_b32_e32 v8, v3
.LBB0_6:                                ;   in Loop: Header=BB0_2 Depth=1
	s_or_b32 exec_lo, exec_lo, s0
	s_load_dwordx2 s[0:1], s[6:7], 0x0
	v_mul_lo_u32 v4, v8, s18
	v_mul_lo_u32 v11, v7, s19
	v_mad_u64_u32 v[9:10], null, v7, s18, 0
	s_add_u32 s16, s16, 1
	s_addc_u32 s17, s17, 0
	s_add_u32 s6, s6, 8
	s_addc_u32 s7, s7, 0
	;; [unrolled: 2-line block ×3, first 2 shown]
	v_add3_u32 v4, v10, v11, v4
	v_sub_co_u32 v5, vcc_lo, v5, v9
	v_sub_co_ci_u32_e32 v4, vcc_lo, v6, v4, vcc_lo
	s_waitcnt lgkmcnt(0)
	v_mul_lo_u32 v6, s1, v5
	v_mul_lo_u32 v4, s0, v4
	v_mad_u64_u32 v[1:2], null, s0, v5, v[1:2]
	v_cmp_ge_u64_e64 s0, s[16:17], s[10:11]
	s_and_b32 vcc_lo, exec_lo, s0
	v_add3_u32 v2, v6, v2, v4
	s_cbranch_vccnz .LBB0_9
; %bb.7:                                ;   in Loop: Header=BB0_2 Depth=1
	v_mov_b32_e32 v5, v7
	v_mov_b32_e32 v6, v8
	s_branch .LBB0_2
.LBB0_8:
	v_mov_b32_e32 v8, v6
	v_mov_b32_e32 v7, v5
.LBB0_9:
	s_lshl_b64 s[0:1], s[10:11], 3
	v_mul_hi_u32 v5, 0x4a7904b, v0
	s_add_u32 s0, s12, s0
	s_addc_u32 s1, s13, s1
                                        ; implicit-def: $vgpr164_vgpr165
                                        ; implicit-def: $vgpr152_vgpr153
                                        ; implicit-def: $vgpr140_vgpr141
                                        ; implicit-def: $vgpr128_vgpr129
                                        ; implicit-def: $vgpr124_vgpr125
                                        ; implicit-def: $vgpr116_vgpr117
                                        ; implicit-def: $vgpr104_vgpr105
                                        ; implicit-def: $vgpr184_vgpr185
                                        ; implicit-def: $vgpr180_vgpr181
                                        ; implicit-def: $vgpr132_vgpr133
                                        ; implicit-def: $vgpr144_vgpr145
                                        ; implicit-def: $vgpr136_vgpr137
                                        ; implicit-def: $vgpr160_vgpr161
                                        ; implicit-def: $vgpr96_vgpr97
                                        ; implicit-def: $vgpr120_vgpr121
                                        ; implicit-def: $vgpr112_vgpr113
                                        ; implicit-def: $vgpr176_vgpr177
                                        ; implicit-def: $vgpr172_vgpr173
                                        ; implicit-def: $vgpr188_vgpr189
                                        ; implicit-def: $vgpr192_vgpr193
                                        ; implicit-def: $vgpr92_vgpr93
                                        ; implicit-def: $vgpr168_vgpr169
                                        ; implicit-def: $vgpr148_vgpr149
                                        ; implicit-def: $vgpr204_vgpr205
                                        ; implicit-def: $vgpr196_vgpr197
                                        ; implicit-def: $vgpr200_vgpr201
                                        ; implicit-def: $vgpr100_vgpr101
                                        ; implicit-def: $vgpr220_vgpr221
                                        ; implicit-def: $vgpr216_vgpr217
                                        ; implicit-def: $vgpr212_vgpr213
                                        ; implicit-def: $vgpr208_vgpr209
                                        ; implicit-def: $vgpr108_vgpr109
                                        ; implicit-def: $vgpr156_vgpr157
	s_load_dwordx2 s[0:1], s[0:1], 0x0
	s_load_dwordx2 s[4:5], s[4:5], 0x20
	s_waitcnt lgkmcnt(0)
	v_mul_lo_u32 v3, s0, v8
	v_mul_lo_u32 v4, s1, v7
	v_mad_u64_u32 v[1:2], null, s0, v7, v[1:2]
	v_cmp_gt_u64_e32 vcc_lo, s[4:5], v[7:8]
                                        ; implicit-def: $vgpr6_vgpr7
	v_add3_u32 v2, v4, v2, v3
	v_mul_u32_u24_e32 v3, 55, v5
	v_lshlrev_b64 v[1:2], 4, v[1:2]
	v_sub_nc_u32_e32 v224, v0, v3
	buffer_store_dword v1, off, s[36:39], 0 ; 4-byte Folded Spill
	buffer_store_dword v2, off, s[36:39], 0 offset:4 ; 4-byte Folded Spill
                                        ; implicit-def: $vgpr2_vgpr3
	s_and_saveexec_b32 s1, vcc_lo
	s_cbranch_execz .LBB0_11
; %bb.10:
	s_clause 0x1
	buffer_load_dword v2, off, s[36:39], 0
	buffer_load_dword v3, off, s[36:39], 0 offset:4
	v_mov_b32_e32 v225, 0
	v_lshlrev_b64 v[0:1], 4, v[224:225]
	s_waitcnt vmcnt(1)
	v_add_co_u32 v2, s0, s2, v2
	s_waitcnt vmcnt(0)
	v_add_co_ci_u32_e64 v3, s0, s3, v3, s0
	v_add_co_u32 v8, s0, v2, v0
	v_add_co_ci_u32_e64 v9, s0, v3, v1, s0
	v_add_co_u32 v10, s0, 0x1000, v8
	;; [unrolled: 2-line block ×10, first 2 shown]
	v_add_co_ci_u32_e64 v27, s0, 0, v9, s0
	s_clause 0x5
	global_load_dwordx4 v[4:7], v[8:9], off
	global_load_dwordx4 v[0:3], v[8:9], off offset:880
	global_load_dwordx4 v[106:109], v[12:13], off offset:608
	;; [unrolled: 1-line block ×5, first 2 shown]
	v_add_co_u32 v10, s0, 0x2800, v8
	v_add_co_ci_u32_e64 v11, s0, 0, v9, s0
	v_add_co_u32 v28, s0, 0x1800, v8
	v_add_co_ci_u32_e64 v29, s0, 0, v9, s0
	;; [unrolled: 2-line block ×3, first 2 shown]
	s_clause 0x3
	global_load_dwordx4 v[146:149], v[24:25], off offset:352
	global_load_dwordx4 v[110:113], v[24:25], off offset:1232
	;; [unrolled: 1-line block ×4, first 2 shown]
	v_add_co_u32 v24, s0, 0x800, v8
	v_add_co_ci_u32_e64 v25, s0, 0, v9, s0
	v_add_co_u32 v8, s0, 0x7000, v8
	v_add_co_ci_u32_e64 v9, s0, 0, v9, s0
	s_clause 0x18
	global_load_dwordx4 v[170:173], v[30:31], off offset:624
	global_load_dwordx4 v[134:137], v[10:11], off offset:1200
	;; [unrolled: 1-line block ×25, first 2 shown]
.LBB0_11:
	s_or_b32 exec_lo, exec_lo, s1
	s_waitcnt vmcnt(5)
	v_add_f64 v[8:9], v[218:219], v[154:155]
	v_add_f64 v[10:11], v[214:215], v[106:107]
	;; [unrolled: 1-line block ×3, first 2 shown]
	v_add_f64 v[12:13], v[108:109], -v[216:217]
	v_add_f64 v[16:17], v[212:213], -v[208:209]
	v_add_f64 v[22:23], v[166:167], v[98:99]
	v_add_f64 v[24:25], v[146:147], v[198:199]
	v_add_f64 v[18:19], v[156:157], -v[220:221]
	v_add_f64 v[26:27], v[202:203], v[194:195]
	v_add_f64 v[28:29], v[200:201], -v[148:149]
	v_add_f64 v[30:31], v[204:205], -v[196:197]
	;; [unrolled: 1-line block ×3, first 2 shown]
	s_mov_b32 s12, 0x37e14327
	s_mov_b32 s16, 0xe976ee23
	;; [unrolled: 1-line block ×4, first 2 shown]
	v_add_f64 v[34:35], v[118:119], v[190:191]
	v_add_f64 v[36:37], v[110:111], v[186:187]
	;; [unrolled: 1-line block ×3, first 2 shown]
	s_waitcnt vmcnt(1)
	v_add_f64 v[46:47], v[182:183], v[158:159]
	v_add_f64 v[48:49], v[178:179], v[134:135]
	;; [unrolled: 1-line block ×3, first 2 shown]
	v_add_f64 v[52:53], v[136:137], -v[180:181]
	v_add_f64 v[20:21], v[10:11], v[8:9]
	v_add_f64 v[56:57], v[8:9], -v[14:15]
	v_add_f64 v[58:59], v[132:133], -v[144:145]
	;; [unrolled: 1-line block ×3, first 2 shown]
	v_add_f64 v[74:75], v[16:17], v[12:13]
	v_add_f64 v[76:77], v[24:25], v[22:23]
	v_add_f64 v[60:61], v[160:161], -v[184:185]
	s_waitcnt vmcnt(0)
	v_add_f64 v[62:63], v[162:163], v[114:115]
	v_add_f64 v[64:65], v[150:151], v[122:123]
	v_add_f64 v[16:17], v[18:19], -v[16:17]
	v_add_f64 v[12:13], v[12:13], -v[18:19]
	s_mov_b32 s4, 0x36b3c0b5
	s_mov_b32 s5, 0x3fac98ee
	v_add_f64 v[8:9], v[10:11], -v[8:9]
	v_add_f64 v[78:79], v[26:27], -v[24:25]
	v_add_f64 v[80:81], v[30:31], v[28:29]
	v_add_f64 v[82:83], v[30:31], -v[28:29]
	v_add_f64 v[28:29], v[28:29], -v[32:33]
	s_mov_b32 s6, 0xaaaaaaaa
	s_mov_b32 s14, 0xb247c609
	s_mov_b32 s18, 0x429ad128
	s_mov_b32 s7, 0xbff2aaaa
	v_add_f64 v[20:21], v[14:15], v[20:21]
	v_add_f64 v[14:15], v[14:15], -v[10:11]
	v_mul_f64 v[56:57], v[56:57], s[12:13]
	v_mul_f64 v[54:55], v[54:55], s[16:17]
	v_add_f64 v[10:11], v[22:23], -v[26:27]
	v_add_f64 v[26:27], v[26:27], v[76:77]
	v_add_f64 v[18:19], v[74:75], v[18:19]
	s_mov_b32 s15, 0x3fd5d0dc
	s_mov_b32 s19, 0x3febfeb5
	v_add_f64 v[40:41], v[188:189], -v[112:113]
	v_add_f64 v[42:43], v[176:177], -v[172:173]
	v_add_f64 v[44:45], v[192:193], -v[120:121]
	v_add_f64 v[66:67], v[138:139], v[126:127]
	v_add_f64 v[68:69], v[124:125], -v[152:153]
	v_add_f64 v[70:71], v[140:141], -v[128:129]
	v_add_f64 v[22:23], v[24:25], -v[22:23]
	v_add_f64 v[24:25], v[36:37], v[34:35]
	v_add_f64 v[84:85], v[34:35], -v[38:39]
	v_add_f64 v[86:87], v[38:39], -v[36:37]
	v_add_f64 v[34:35], v[36:37], -v[34:35]
	v_add_f64 v[36:37], v[48:49], v[46:47]
	v_add_f64 v[76:77], v[46:47], -v[50:51]
	v_add_f64 v[4:5], v[4:5], v[20:21]
	v_mul_f64 v[74:75], v[14:15], s[4:5]
	v_mul_f64 v[227:228], v[12:13], s[18:19]
	v_fma_f64 v[229:230], v[16:17], s[14:15], v[54:55]
	v_fma_f64 v[14:15], v[14:15], s[4:5], v[56:57]
	v_add_f64 v[231:232], v[50:51], -v[48:49]
	v_add_f64 v[233:234], v[58:59], v[52:53]
	v_add_f64 v[235:236], v[58:59], -v[52:53]
	v_add_f64 v[46:47], v[48:49], -v[46:47]
	;; [unrolled: 1-line block ×3, first 2 shown]
	v_add_f64 v[52:53], v[64:65], v[62:63]
	s_mov_b32 s22, 0x5476071b
	s_mov_b32 s23, 0x3fe77f67
	v_add_f64 v[72:73], v[116:117], -v[164:165]
	v_add_f64 v[30:31], v[32:33], -v[30:31]
	v_mul_f64 v[82:83], v[82:83], s[16:17]
	v_mul_f64 v[10:11], v[10:11], s[12:13]
	;; [unrolled: 1-line block ×4, first 2 shown]
	v_add_f64 v[247:248], v[0:1], v[26:27]
	v_fma_f64 v[0:1], v[12:13], s[18:19], -v[54:55]
	s_mov_b32 s10, 0x37c3f68c
	v_fma_f64 v[20:21], v[20:21], s[6:7], v[4:5]
	v_fma_f64 v[54:55], v[8:9], s[22:23], -v[74:75]
	s_mov_b32 s11, 0x3fdc38aa
	s_mov_b32 s21, 0xbfd5d0dc
	;; [unrolled: 1-line block ×5, first 2 shown]
	v_add_f64 v[88:89], v[42:43], v[40:41]
	v_add_f64 v[225:226], v[42:43], -v[40:41]
	v_add_f64 v[40:41], v[40:41], -v[44:45]
	;; [unrolled: 1-line block ×4, first 2 shown]
	v_fma_f64 v[16:17], v[16:17], s[20:21], -v[227:228]
	v_fma_f64 v[8:9], v[8:9], s[24:25], -v[56:57]
	v_fma_f64 v[56:57], v[18:19], s[10:11], v[229:230]
	v_add_f64 v[24:25], v[38:39], v[24:25]
	v_add_f64 v[36:37], v[50:51], v[36:37]
	;; [unrolled: 1-line block ×3, first 2 shown]
	v_add_f64 v[239:240], v[66:67], -v[64:65]
	v_add_f64 v[38:39], v[68:69], -v[72:73]
	v_add_f64 v[32:33], v[80:81], v[32:33]
	v_fma_f64 v[52:53], v[30:31], s[14:15], v[82:83]
	v_add_f64 v[14:15], v[14:15], v[20:21]
	v_fma_f64 v[66:67], v[78:79], s[4:5], v[10:11]
	v_fma_f64 v[28:29], v[28:29], s[18:19], -v[82:83]
	v_fma_f64 v[30:31], v[30:31], s[20:21], -v[243:244]
	;; [unrolled: 1-line block ×3, first 2 shown]
	v_fma_f64 v[26:27], v[26:27], s[6:7], v[247:248]
	v_fma_f64 v[22:23], v[22:23], s[22:23], -v[245:246]
	v_fma_f64 v[0:1], v[18:19], s[10:11], v[0:1]
	v_add_f64 v[54:55], v[54:55], v[20:21]
	v_add_f64 v[42:43], v[44:45], -v[42:43]
	v_add_f64 v[58:59], v[60:61], -v[58:59]
	v_add_f64 v[241:242], v[70:71], v[68:69]
	v_add_f64 v[70:71], v[72:73], -v[70:71]
	v_add_f64 v[62:63], v[64:65], -v[62:63]
	v_mul_f64 v[64:65], v[84:85], s[12:13]
	v_mul_f64 v[68:69], v[225:226], s[16:17]
	v_fma_f64 v[16:17], v[18:19], s[10:11], v[16:17]
	v_add_f64 v[8:9], v[8:9], v[20:21]
	v_mul_f64 v[18:19], v[40:41], s[18:19]
	v_mul_f64 v[74:75], v[86:87], s[4:5]
	;; [unrolled: 1-line block ×3, first 2 shown]
	v_add_f64 v[78:79], v[90:91], v[24:25]
	v_add_f64 v[20:21], v[56:57], v[14:15]
	v_mul_f64 v[80:81], v[235:236], s[16:17]
	v_mul_f64 v[82:83], v[231:232], s[4:5]
	;; [unrolled: 1-line block ×5, first 2 shown]
	v_add_f64 v[94:95], v[94:95], v[36:37]
	v_add_f64 v[227:228], v[102:103], v[50:51]
	v_mul_f64 v[225:226], v[239:240], s[4:5]
	v_fma_f64 v[52:53], v[32:33], s[10:11], v[52:53]
	v_fma_f64 v[28:29], v[32:33], s[10:11], v[28:29]
	;; [unrolled: 1-line block ×3, first 2 shown]
	v_add_f64 v[32:33], v[66:67], v[26:27]
	v_add_f64 v[10:11], v[10:11], v[26:27]
	;; [unrolled: 1-line block ×3, first 2 shown]
	v_add_f64 v[26:27], v[54:55], -v[0:1]
	v_add_f64 v[54:55], v[0:1], v[54:55]
	v_mul_f64 v[0:1], v[38:39], s[18:19]
	v_mad_u32_u24 v222, v224, 56, 0
	v_add_f64 v[66:67], v[16:17], v[8:9]
	v_add_f64 v[8:9], v[8:9], -v[16:17]
	v_fma_f64 v[16:17], v[24:25], s[6:7], v[78:79]
	v_fma_f64 v[24:25], v[86:87], s[4:5], v[64:65]
	ds_write2_b64 v222, v[4:5], v[20:21] offset1:1
	v_add_f64 v[4:5], v[88:89], v[44:45]
	v_fma_f64 v[20:21], v[42:43], s[14:15], v[68:69]
	v_fma_f64 v[40:41], v[40:41], s[18:19], -v[68:69]
	v_fma_f64 v[18:19], v[42:43], s[20:21], -v[18:19]
	v_fma_f64 v[42:43], v[34:35], s[24:25], -v[64:65]
	v_fma_f64 v[34:35], v[34:35], s[22:23], -v[74:75]
	v_add_f64 v[44:45], v[233:234], v[60:61]
	v_fma_f64 v[36:37], v[36:37], s[6:7], v[94:95]
	v_fma_f64 v[60:61], v[231:232], s[4:5], v[76:77]
	v_fma_f64 v[64:65], v[58:59], s[14:15], v[80:81]
	v_fma_f64 v[68:69], v[46:47], s[22:23], -v[82:83]
	v_fma_f64 v[46:47], v[46:47], s[24:25], -v[76:77]
	v_fma_f64 v[58:59], v[58:59], s[20:21], -v[84:85]
	v_fma_f64 v[48:49], v[48:49], s[18:19], -v[80:81]
	v_add_f64 v[72:73], v[241:242], v[72:73]
	v_fma_f64 v[50:51], v[50:51], s[6:7], v[227:228]
	v_fma_f64 v[74:75], v[239:240], s[4:5], v[90:91]
	;; [unrolled: 8-line block ×3, first 2 shown]
	v_fma_f64 v[18:19], v[4:5], s[10:11], v[18:19]
	v_add_f64 v[42:43], v[42:43], v[16:17]
	v_add_f64 v[16:17], v[34:35], v[16:17]
	v_add_f64 v[38:39], v[52:53], v[32:33]
	v_add_f64 v[82:83], v[30:31], v[10:11]
	v_add_f64 v[34:35], v[60:61], v[36:37]
	v_fma_f64 v[60:61], v[44:45], s[10:11], v[64:65]
	v_add_f64 v[64:65], v[68:69], v[36:37]
	v_add_f64 v[36:37], v[46:47], v[36:37]
	v_fma_f64 v[46:47], v[44:45], s[10:11], v[58:59]
	v_fma_f64 v[44:45], v[44:45], s[10:11], v[48:49]
	v_add_f64 v[84:85], v[22:23], -v[28:29]
	v_add_nc_u32_e32 v223, 0xc08, v222
	v_add_f64 v[48:49], v[74:75], v[50:51]
	v_fma_f64 v[58:59], v[72:73], s[10:11], v[76:77]
	v_add_f64 v[68:69], v[80:81], v[50:51]
	v_add_f64 v[50:51], v[62:63], v[50:51]
	v_fma_f64 v[62:63], v[72:73], s[10:11], v[70:71]
	v_fma_f64 v[12:13], v[72:73], s[10:11], v[12:13]
	v_add_nc_u32_e32 v0, 0xc18, v222
	ds_write2_b64 v222, v[66:67], v[26:27] offset0:2 offset1:3
	ds_write2_b64 v222, v[54:55], v[8:9] offset0:4 offset1:5
	ds_write2_b64 v223, v[247:248], v[38:39] offset1:1
	ds_write2_b64 v0, v[82:83], v[84:85] offset1:1
	v_add_f64 v[8:9], v[28:29], v[22:23]
	v_add_f64 v[10:11], v[10:11], -v[30:31]
	v_add_f64 v[26:27], v[18:19], v[42:43]
	v_add_f64 v[28:29], v[16:17], -v[40:41]
	;; [unrolled: 2-line block ×4, first 2 shown]
	v_add_f64 v[18:19], v[48:49], -v[58:59]
	v_add_f64 v[22:23], v[20:21], v[24:25]
	v_add_f64 v[42:43], v[46:47], v[36:37]
	v_add_f64 v[54:55], v[64:65], -v[44:45]
	v_add_f64 v[32:33], v[32:33], -v[52:53]
	v_add_f64 v[44:45], v[44:45], v[64:65]
	v_add_f64 v[36:37], v[36:37], -v[46:47]
	v_add_f64 v[20:21], v[24:25], -v[20:21]
	v_add_f64 v[46:47], v[58:59], v[48:49]
	v_add_f64 v[24:25], v[34:35], -v[60:61]
	v_add_f64 v[64:65], v[62:63], v[50:51]
	;; [unrolled: 2-line block ×3, first 2 shown]
	v_add_f64 v[16:17], v[50:51], -v[62:63]
	v_lshl_add_u32 v255, v224, 3, 0
	v_add_nc_u32_e32 v4, 0xc28, v222
	v_add_nc_u32_e32 v233, 0x2418, v222
	;; [unrolled: 1-line block ×12, first 2 shown]
	ds_write2_b64 v4, v[8:9], v[10:11] offset1:1
	ds_write2_b64 v5, v[78:79], v[22:23] offset1:1
	;; [unrolled: 1-line block ×9, first 2 shown]
	ds_write_b64 v222, v[14:15] offset:48
	ds_write_b64 v222, v[32:33] offset:3128
	;; [unrolled: 1-line block ×4, first 2 shown]
	ds_write2_b64 v103, v[12:13], v[16:17] offset1:1
	ds_write_b64 v222, v[18:19] offset:12368
	s_waitcnt lgkmcnt(0)
	s_waitcnt_vscnt null, 0x0
	s_barrier
	buffer_gl0_inv
	v_add_nc_u32_e32 v234, 0x1000, v255
	v_add_nc_u32_e32 v235, 0x1800, v255
	;; [unrolled: 1-line block ×8, first 2 shown]
	ds_read_b64 v[227:228], v255 offset:14880
	ds_read2_b64 v[12:15], v255 offset1:55
	ds_read2_b64 v[8:11], v255 offset0:110 offset1:175
	ds_read2_b64 v[88:91], v242 offset0:94 offset1:149
	;; [unrolled: 1-line block ×13, first 2 shown]
	ds_read2_b64 v[44:47], v236 offset1:55
	ds_read2_b64 v[36:39], v237 offset0:94 offset1:149
	v_cmp_gt_u32_e64 s0, 10, v224
                                        ; implicit-def: $vgpr229_vgpr230
                                        ; implicit-def: $vgpr22_vgpr23
                                        ; implicit-def: $vgpr26_vgpr27
                                        ; implicit-def: $vgpr30_vgpr31
                                        ; implicit-def: $vgpr34_vgpr35
	s_and_saveexec_b32 s1, s0
	s_cbranch_execz .LBB0_13
; %bb.12:
	v_add_nc_u32_e32 v20, 0x1a00, v255
	v_add_nc_u32_e32 v21, 0x2400, v255
	ds_read2_b64 v[16:19], v238 offset0:37 offset1:212
	ds_read2_b64 v[32:35], v234 offset0:3 offset1:178
	;; [unrolled: 1-line block ×5, first 2 shown]
	ds_read_b64 v[229:230], v255 offset:15320
.LBB0_13:
	s_or_b32 exec_lo, exec_lo, s1
	v_add_f64 v[94:95], v[220:221], v[156:157]
	v_add_f64 v[108:109], v[216:217], v[108:109]
	v_add_f64 v[154:155], v[154:155], -v[218:219]
	v_add_f64 v[106:107], v[106:107], -v[214:215]
	v_add_f64 v[156:157], v[212:213], v[208:209]
	v_add_f64 v[206:207], v[210:211], -v[206:207]
	v_add_f64 v[100:101], v[168:169], v[100:101]
	v_add_f64 v[148:149], v[148:149], v[200:201]
	v_add_f64 v[170:171], v[174:175], -v[170:171]
	v_add_f64 v[98:99], v[98:99], -v[166:167]
	v_add_f64 v[166:167], v[204:205], v[196:197]
	v_add_f64 v[120:121], v[120:121], v[192:193]
	;; [unrolled: 1-line block ×3, first 2 shown]
	v_add_f64 v[130:131], v[130:131], -v[142:143]
	v_add_f64 v[122:123], v[122:123], -v[150:151]
	v_add_f64 v[128:129], v[140:141], v[128:129]
	v_add_f64 v[126:127], v[138:139], -v[126:127]
	v_add_f64 v[160:161], v[184:185], v[160:161]
	v_add_f64 v[136:137], v[180:181], v[136:137]
	;; [unrolled: 1-line block ×4, first 2 shown]
	v_add_f64 v[146:147], v[198:199], -v[146:147]
	v_add_f64 v[168:169], v[202:203], -v[194:195]
	v_add_f64 v[174:175], v[108:109], v[94:95]
	v_add_f64 v[138:139], v[108:109], -v[94:95]
	v_add_f64 v[110:111], v[186:187], -v[110:111]
	;; [unrolled: 1-line block ×4, first 2 shown]
	v_add_f64 v[140:141], v[206:207], v[106:107]
	v_add_f64 v[142:143], v[206:207], -v[106:107]
	v_add_f64 v[106:107], v[106:107], -v[154:155]
	v_add_f64 v[150:151], v[148:149], v[100:101]
	v_add_f64 v[172:173], v[176:177], v[172:173]
	;; [unrolled: 1-line block ×3, first 2 shown]
	v_add_f64 v[144:145], v[154:155], -v[206:207]
	v_add_f64 v[152:153], v[148:149], -v[100:101]
	;; [unrolled: 1-line block ×7, first 2 shown]
	v_add_f64 v[182:183], v[136:137], v[160:161]
	v_add_f64 v[192:193], v[124:125], v[116:117]
	v_add_f64 v[114:115], v[114:115], -v[162:163]
	v_add_f64 v[164:165], v[168:169], -v[146:147]
	v_add_f64 v[156:157], v[156:157], v[174:175]
	v_add_f64 v[174:175], v[112:113], v[120:121]
	;; [unrolled: 1-line block ×3, first 2 shown]
	v_mul_f64 v[94:95], v[94:95], s[12:13]
	v_mul_f64 v[186:187], v[108:109], s[4:5]
	v_add_f64 v[146:147], v[146:147], -v[98:99]
	v_mul_f64 v[142:143], v[142:143], s[16:17]
	v_add_f64 v[176:177], v[112:113], -v[120:121]
	v_add_f64 v[150:151], v[166:167], v[150:151]
	v_mul_f64 v[166:167], v[106:107], s[18:19]
	v_add_f64 v[120:121], v[120:121], -v[172:173]
	v_add_f64 v[112:113], v[172:173], -v[112:113]
	;; [unrolled: 1-line block ×3, first 2 shown]
	v_add_f64 v[140:141], v[140:141], v[154:155]
	v_add_f64 v[178:179], v[170:171], v[110:111]
	v_add_f64 v[110:111], v[110:111], -v[118:119]
	v_add_f64 v[184:185], v[136:137], -v[160:161]
	;; [unrolled: 1-line block ×5, first 2 shown]
	v_add_f64 v[132:133], v[132:133], v[182:183]
	v_add_f64 v[188:189], v[130:131], v[134:135]
	;; [unrolled: 1-line block ×4, first 2 shown]
	v_add_f64 v[134:135], v[134:135], -v[158:159]
	v_fma_f64 v[108:109], v[108:109], s[4:5], v[94:95]
	v_fma_f64 v[94:95], v[138:139], s[24:25], -v[94:95]
	v_fma_f64 v[138:139], v[138:139], s[22:23], -v[186:187]
	v_fma_f64 v[174:175], v[144:145], s[14:15], v[142:143]
	v_fma_f64 v[106:107], v[106:107], s[18:19], -v[142:143]
	v_add_f64 v[194:195], v[124:125], -v[116:117]
	v_fma_f64 v[142:143], v[144:145], s[20:21], -v[166:167]
	v_add_f64 v[116:117], v[116:117], -v[128:129]
	v_add_f64 v[124:125], v[128:129], -v[124:125]
	;; [unrolled: 1-line block ×3, first 2 shown]
	v_add_f64 v[128:129], v[128:129], v[192:193]
	v_add_f64 v[196:197], v[126:127], v[122:123]
	v_add_f64 v[122:123], v[122:123], -v[114:115]
	v_add_f64 v[168:169], v[98:99], -v[168:169]
	v_mul_f64 v[100:101], v[100:101], s[12:13]
	v_mul_f64 v[154:155], v[148:149], s[4:5]
	v_add_f64 v[2:3], v[2:3], v[150:151]
	v_add_f64 v[98:99], v[162:163], v[98:99]
	v_mul_f64 v[162:163], v[146:147], s[18:19]
	v_fma_f64 v[144:145], v[156:157], s[6:7], v[6:7]
	v_mul_f64 v[156:157], v[164:165], s[16:17]
	v_add_f64 v[170:171], v[118:119], -v[170:171]
	v_mul_f64 v[120:121], v[120:121], s[12:13]
	v_mul_f64 v[164:165], v[112:113], s[4:5]
	;; [unrolled: 1-line block ×3, first 2 shown]
	v_add_f64 v[180:181], v[92:93], v[172:173]
	v_fma_f64 v[92:93], v[140:141], s[10:11], v[174:175]
	v_fma_f64 v[106:107], v[140:141], s[10:11], v[106:107]
	;; [unrolled: 1-line block ×3, first 2 shown]
	v_add_f64 v[118:119], v[178:179], v[118:119]
	v_mul_f64 v[178:179], v[110:111], s[18:19]
	v_add_f64 v[130:131], v[158:159], -v[130:131]
	v_mul_f64 v[142:143], v[160:161], s[12:13]
	v_mul_f64 v[160:161], v[190:191], s[16:17]
	v_add_f64 v[96:97], v[96:97], v[132:133]
	v_mul_f64 v[174:175], v[134:135], s[18:19]
	v_add_f64 v[126:127], v[114:115], -v[126:127]
	v_mul_f64 v[116:117], v[116:117], s[12:13]
	v_mul_f64 v[182:183], v[124:125], s[4:5]
	;; [unrolled: 1-line block ×3, first 2 shown]
	v_add_f64 v[104:105], v[104:105], v[128:129]
	v_add_f64 v[94:95], v[94:95], v[144:145]
	;; [unrolled: 1-line block ×4, first 2 shown]
	v_mul_f64 v[144:145], v[136:137], s[4:5]
	v_mul_f64 v[190:191], v[122:123], s[18:19]
	v_fma_f64 v[148:149], v[148:149], s[4:5], v[100:101]
	v_fma_f64 v[154:155], v[152:153], s[22:23], -v[154:155]
	v_fma_f64 v[150:151], v[150:151], s[6:7], v[2:3]
	v_fma_f64 v[100:101], v[152:153], s[24:25], -v[100:101]
	;; [unrolled: 2-line block ×3, first 2 shown]
	v_fma_f64 v[156:157], v[168:169], s[20:21], -v[162:163]
	v_fma_f64 v[112:113], v[112:113], s[4:5], v[120:121]
	v_fma_f64 v[162:163], v[176:177], s[22:23], -v[164:165]
	v_fma_f64 v[164:165], v[172:173], s[6:7], v[180:181]
	v_fma_f64 v[110:111], v[110:111], s[18:19], -v[166:167]
	v_add_f64 v[158:159], v[188:189], v[158:159]
	v_fma_f64 v[132:133], v[132:133], s[6:7], v[96:97]
	v_fma_f64 v[136:137], v[136:137], s[4:5], v[142:143]
	v_fma_f64 v[142:143], v[184:185], s[24:25], -v[142:143]
	v_fma_f64 v[134:135], v[134:135], s[18:19], -v[160:161]
	v_add_f64 v[114:115], v[196:197], v[114:115]
	v_add_f64 v[172:173], v[94:95], -v[140:141]
	v_add_f64 v[192:193], v[106:107], v[138:139]
	v_add_f64 v[106:107], v[138:139], -v[106:107]
	v_add_f64 v[138:139], v[140:141], v[94:95]
	v_fma_f64 v[94:95], v[176:177], s[24:25], -v[120:121]
	v_fma_f64 v[120:121], v[170:171], s[14:15], v[166:167]
	v_fma_f64 v[140:141], v[170:171], s[20:21], -v[178:179]
	v_fma_f64 v[144:145], v[184:185], s[22:23], -v[144:145]
	v_fma_f64 v[166:167], v[130:131], s[14:15], v[160:161]
	v_fma_f64 v[130:131], v[130:131], s[20:21], -v[174:175]
	v_fma_f64 v[128:129], v[128:129], s[6:7], v[104:105]
	v_fma_f64 v[124:125], v[124:125], s[4:5], v[116:117]
	v_fma_f64 v[160:161], v[194:195], s[22:23], -v[182:183]
	v_fma_f64 v[116:117], v[194:195], s[24:25], -v[116:117]
	v_fma_f64 v[170:171], v[126:127], s[14:15], v[186:187]
	v_fma_f64 v[126:127], v[126:127], s[20:21], -v[190:191]
	v_fma_f64 v[122:123], v[122:123], s[18:19], -v[186:187]
	v_add_f64 v[148:149], v[148:149], v[150:151]
	v_add_f64 v[154:155], v[154:155], v[150:151]
	;; [unrolled: 1-line block ×3, first 2 shown]
	v_fma_f64 v[150:151], v[98:99], s[10:11], v[152:153]
	v_fma_f64 v[152:153], v[98:99], s[10:11], v[156:157]
	v_fma_f64 v[98:99], v[98:99], s[10:11], v[146:147]
	v_add_f64 v[112:113], v[112:113], v[164:165]
	v_add_f64 v[146:147], v[162:163], v[164:165]
	v_fma_f64 v[110:111], v[118:119], s[10:11], v[110:111]
	v_add_f64 v[94:95], v[94:95], v[164:165]
	v_fma_f64 v[120:121], v[118:119], s[10:11], v[120:121]
	v_fma_f64 v[140:141], v[118:119], s[10:11], v[140:141]
	v_add_f64 v[118:119], v[136:137], v[132:133]
	v_add_f64 v[136:137], v[144:145], v[132:133]
	v_add_f64 v[132:133], v[142:143], v[132:133]
	v_fma_f64 v[142:143], v[158:159], s[10:11], v[166:167]
	v_fma_f64 v[130:131], v[158:159], s[10:11], v[130:131]
	;; [unrolled: 1-line block ×3, first 2 shown]
	v_add_f64 v[124:125], v[124:125], v[128:129]
	v_add_f64 v[144:145], v[160:161], v[128:129]
	;; [unrolled: 1-line block ×3, first 2 shown]
	v_fma_f64 v[128:129], v[114:115], s[10:11], v[170:171]
	v_fma_f64 v[126:127], v[114:115], s[10:11], v[126:127]
	;; [unrolled: 1-line block ×3, first 2 shown]
	v_add_f64 v[168:169], v[108:109], -v[92:93]
	v_add_f64 v[108:109], v[92:93], v[108:109]
	v_add_f64 v[122:123], v[148:149], -v[150:151]
	v_add_f64 v[156:157], v[100:101], -v[152:153]
	v_add_f64 v[158:159], v[98:99], v[154:155]
	v_add_f64 v[98:99], v[154:155], -v[98:99]
	v_add_f64 v[100:101], v[152:153], v[100:101]
	v_add_f64 v[148:149], v[150:151], v[148:149]
	v_add_f64 v[150:151], v[112:113], -v[120:121]
	v_add_f64 v[152:153], v[94:95], -v[140:141]
	v_add_f64 v[154:155], v[110:111], v[146:147]
	v_add_f64 v[110:111], v[146:147], -v[110:111]
	v_add_f64 v[140:141], v[140:141], v[94:95]
	;; [unrolled: 6-line block ×4, first 2 shown]
	v_add_f64 v[94:95], v[128:129], v[124:125]
	s_waitcnt lgkmcnt(0)
	s_barrier
	buffer_gl0_inv
	ds_write2_b64 v222, v[6:7], v[168:169] offset1:1
	ds_write2_b64 v222, v[172:173], v[192:193] offset0:2 offset1:3
	ds_write2_b64 v222, v[106:107], v[138:139] offset0:4 offset1:5
	ds_write_b64 v222, v[108:109] offset:48
	ds_write2_b64 v223, v[2:3], v[122:123] offset1:1
	ds_write2_b64 v0, v[156:157], v[158:159] offset1:1
	ds_write2_b64 v4, v[98:99], v[100:101] offset1:1
	ds_write_b64 v222, v[148:149] offset:3128
	ds_write2_b64 v5, v[180:181], v[150:151] offset1:1
	ds_write2_b64 v1, v[152:153], v[154:155] offset1:1
	ds_write2_b64 v226, v[110:111], v[140:141] offset1:1
	ds_write_b64 v222, v[112:113] offset:6208
	ds_write2_b64 v233, v[96:97], v[120:121] offset1:1
	ds_write2_b64 v232, v[146:147], v[160:161] offset1:1
	ds_write2_b64 v231, v[134:135], v[130:131] offset1:1
	ds_write_b64 v222, v[118:119] offset:9288
	ds_write2_b64 v225, v[104:105], v[132:133] offset1:1
	ds_write2_b64 v102, v[136:137], v[142:143] offset1:1
	ds_write2_b64 v103, v[114:115], v[92:93] offset1:1
	ds_write_b64 v222, v[94:95] offset:12368
	s_waitcnt lgkmcnt(0)
	s_barrier
	buffer_gl0_inv
	ds_read2_b64 v[4:7], v255 offset1:55
	ds_read2_b64 v[0:3], v255 offset0:110 offset1:175
	ds_read2_b64 v[164:167], v242 offset0:94 offset1:149
	;; [unrolled: 1-line block ×13, first 2 shown]
	ds_read2_b64 v[120:123], v236 offset1:55
	ds_read2_b64 v[112:115], v237 offset0:94 offset1:149
	ds_read_b64 v[231:232], v255 offset:14880
                                        ; implicit-def: $vgpr233_vgpr234
                                        ; implicit-def: $vgpr98_vgpr99
                                        ; implicit-def: $vgpr102_vgpr103
                                        ; implicit-def: $vgpr106_vgpr107
                                        ; implicit-def: $vgpr110_vgpr111
	s_and_saveexec_b32 s1, s0
	s_cbranch_execz .LBB0_15
; %bb.14:
	v_add_nc_u32_e32 v92, 0x400, v255
	v_add_nc_u32_e32 v96, 0x1000, v255
	v_add_nc_u32_e32 v97, 0x1a00, v255
	v_add_nc_u32_e32 v98, 0x2400, v255
	v_add_nc_u32_e32 v99, 0x3000, v255
	ds_read2_b64 v[92:95], v92 offset0:37 offset1:212
	ds_read2_b64 v[108:111], v96 offset0:3 offset1:178
	;; [unrolled: 1-line block ×5, first 2 shown]
	ds_read_b64 v[233:234], v255 offset:15320
.LBB0_15:
	s_or_b32 exec_lo, exec_lo, s1
	v_and_b32_e32 v168, 0xff, v224
	v_mov_b32_e32 v237, 10
	s_mov_b32 s16, 0x8eee2c13
	s_mov_b32 s17, 0xbfed1bb4
	s_mov_b32 s4, 0xd9c712b6
	v_mul_lo_u16 v168, v168, 37
	s_mov_b32 s5, 0x3fda9628
	s_mov_b32 s10, 0xbb3a28a1
	s_mov_b32 s11, 0xbfe82f19
	s_mov_b32 s6, 0x7f775887
	v_lshrrev_b16 v168, 8, v168
	s_mov_b32 s7, 0xbfe4f49e
	s_mov_b32 s18, 0x43842ef
	;; [unrolled: 1-line block ×4, first 2 shown]
	v_sub_nc_u16 v169, v224, v168
	s_mov_b32 s15, 0xbfc2375f
	s_mov_b32 s20, 0xfd768dbf
	;; [unrolled: 1-line block ×4, first 2 shown]
	v_lshrrev_b16 v169, 1, v169
	s_mov_b32 s22, s20
	s_mov_b32 s12, 0x9bcd5057
	;; [unrolled: 1-line block ×4, first 2 shown]
	v_and_b32_e32 v169, 0x7f, v169
	s_mov_b32 s26, s16
	s_mov_b32 s29, 0x3fefac9e
	;; [unrolled: 1-line block ×4, first 2 shown]
	v_add_nc_u16 v168, v169, v168
	s_mov_b32 s31, 0xbfe14ced
	s_mov_b32 s24, 0x8764f0ba
	;; [unrolled: 1-line block ×4, first 2 shown]
	v_lshrrev_b16 v223, 2, v168
	s_mov_b32 s34, s30
	v_mul_lo_u16 v168, v223, 7
	v_sub_nc_u16 v222, v224, v168
	v_mul_u32_u24_sdwa v168, v222, v237 dst_sel:DWORD dst_unused:UNUSED_PAD src0_sel:BYTE_0 src1_sel:DWORD
	v_lshlrev_b32_e32 v178, 4, v168
	s_clause 0x1
	global_load_dwordx4 v[168:171], v178, s[8:9] offset:16
	global_load_dwordx4 v[238:241], v178, s[8:9]
	s_waitcnt vmcnt(1) lgkmcnt(14)
	v_mul_f64 v[172:173], v[164:165], v[170:171]
	v_fma_f64 v[202:203], v[88:89], v[168:169], -v[172:173]
	v_mul_f64 v[88:89], v[88:89], v[170:171]
	v_fma_f64 v[170:171], v[164:165], v[168:169], v[88:89]
	v_add_nc_u32_e32 v164, 55, v224
	v_and_b32_e32 v88, 0xff, v164
	v_mul_lo_u16 v88, v88, 37
	v_lshrrev_b16 v88, 8, v88
	v_sub_nc_u16 v89, v164, v88
	v_lshrrev_b16 v89, 1, v89
	v_and_b32_e32 v89, 0x7f, v89
	v_add_nc_u16 v88, v89, v88
	v_lshrrev_b16 v235, 2, v88
	v_mul_lo_u16 v88, v235, 7
	v_sub_nc_u16 v236, v164, v88
	v_mul_u32_u24_sdwa v88, v236, v237 dst_sel:DWORD dst_unused:UNUSED_PAD src0_sel:BYTE_0 src1_sel:DWORD
	v_lshlrev_b32_e32 v164, 4, v88
	s_clause 0x1
	global_load_dwordx4 v[172:175], v164, s[8:9] offset:16
	global_load_dwordx4 v[180:183], v164, s[8:9]
	s_waitcnt vmcnt(1)
	v_mul_f64 v[88:89], v[166:167], v[174:175]
	v_fma_f64 v[250:251], v[90:91], v[172:173], -v[88:89]
	v_mul_f64 v[88:89], v[90:91], v[174:175]
	v_fma_f64 v[168:169], v[166:167], v[172:173], v[88:89]
	s_clause 0x1
	global_load_dwordx4 v[88:91], v178, s[8:9] offset:48
	global_load_dwordx4 v[184:187], v178, s[8:9] offset:32
	s_waitcnt vmcnt(1) lgkmcnt(12)
	v_mul_f64 v[166:167], v[160:161], v[90:91]
	v_fma_f64 v[204:205], v[84:85], v[88:89], -v[166:167]
	v_mul_f64 v[84:85], v[84:85], v[90:91]
	v_fma_f64 v[172:173], v[160:161], v[88:89], v[84:85]
	s_clause 0x1
	global_load_dwordx4 v[88:91], v164, s[8:9] offset:48
	global_load_dwordx4 v[188:191], v164, s[8:9] offset:32
	s_waitcnt vmcnt(1)
	v_mul_f64 v[84:85], v[162:163], v[90:91]
	v_fma_f64 v[165:166], v[86:87], v[88:89], -v[84:85]
	v_mul_f64 v[84:85], v[86:87], v[90:91]
	v_fma_f64 v[160:161], v[162:163], v[88:89], v[84:85]
	s_clause 0x1
	global_load_dwordx4 v[84:87], v178, s[8:9] offset:80
	global_load_dwordx4 v[194:197], v178, s[8:9] offset:64
	s_waitcnt vmcnt(1) lgkmcnt(10)
	v_mul_f64 v[88:89], v[156:157], v[86:87]
	v_fma_f64 v[206:207], v[80:81], v[84:85], -v[88:89]
	v_mul_f64 v[80:81], v[80:81], v[86:87]
	v_fma_f64 v[174:175], v[156:157], v[84:85], v[80:81]
	s_clause 0x1
	global_load_dwordx4 v[84:87], v164, s[8:9] offset:80
	global_load_dwordx4 v[198:201], v164, s[8:9] offset:64
	;; [unrolled: 16-line block ×4, first 2 shown]
	s_waitcnt vmcnt(1)
	v_mul_f64 v[72:73], v[150:151], v[78:79]
	v_fma_f64 v[218:219], v[74:75], v[76:77], -v[72:73]
	v_mul_f64 v[72:73], v[74:75], v[78:79]
	v_fma_f64 v[252:253], v[150:151], v[76:77], v[72:73]
	s_waitcnt lgkmcnt(5)
	v_mul_f64 v[72:73], v[144:145], v[182:183]
	v_fma_f64 v[220:221], v[68:69], v[180:181], -v[72:73]
	v_mul_f64 v[68:69], v[68:69], v[182:183]
	v_add_nc_u32_e32 v72, 0x6e, v224
	v_fma_f64 v[216:217], v[144:145], v[180:181], v[68:69]
	v_and_b32_e32 v68, 0xff, v72
	v_mov_b32_e32 v144, v174
	v_mov_b32_e32 v145, v175
	buffer_store_dword v68, off, s[36:39], 0 offset:8 ; 4-byte Folded Spill
	v_mul_lo_u16 v68, v68, 37
	v_lshrrev_b16 v68, 8, v68
	v_sub_nc_u16 v69, v72, v68
	v_lshrrev_b16 v69, 1, v69
	v_and_b32_e32 v69, 0x7f, v69
	v_add_nc_u16 v68, v69, v68
	v_lshrrev_b16 v68, 2, v68
	v_mul_lo_u16 v69, v68, 7
	v_sub_nc_u16 v69, v72, v69
	v_mul_u32_u24_sdwa v72, v69, v237 dst_sel:DWORD dst_unused:UNUSED_PAD src0_sel:BYTE_0 src1_sel:DWORD
	v_lshlrev_b32_e32 v88, 4, v72
	s_clause 0x1
	global_load_dwordx4 v[72:75], v88, s[8:9]
	global_load_dwordx4 v[76:79], v88, s[8:9] offset:16
	s_waitcnt vmcnt(1)
	v_mul_f64 v[90:91], v[146:147], v[74:75]
	v_fma_f64 v[214:215], v[70:71], v[72:73], -v[90:91]
	v_mul_f64 v[70:71], v[70:71], v[74:75]
	v_fma_f64 v[212:213], v[146:147], v[72:73], v[70:71]
	v_mul_f64 v[70:71], v[142:143], v[186:187]
	v_fma_f64 v[210:211], v[66:67], v[184:185], -v[70:71]
	v_mul_f64 v[66:67], v[66:67], v[186:187]
	v_fma_f64 v[192:193], v[142:143], v[184:185], v[66:67]
	s_waitcnt vmcnt(0)
	v_mul_f64 v[66:67], v[140:141], v[78:79]
	v_fma_f64 v[90:91], v[64:65], v[76:77], -v[66:67]
	v_mul_f64 v[64:65], v[64:65], v[78:79]
	v_fma_f64 v[76:77], v[140:141], v[76:77], v[64:65]
	s_waitcnt lgkmcnt(4)
	v_mul_f64 v[64:65], v[136:137], v[190:191]
	v_mov_b32_e32 v140, v172
	v_mov_b32_e32 v141, v173
	v_fma_f64 v[184:185], v[60:61], v[188:189], -v[64:65]
	s_clause 0x1
	global_load_dwordx4 v[64:67], v88, s[8:9] offset:32
	global_load_dwordx4 v[70:73], v88, s[8:9] offset:48
	v_mul_f64 v[60:61], v[60:61], v[190:191]
	v_fma_f64 v[142:143], v[136:137], v[188:189], v[60:61]
	s_waitcnt vmcnt(1)
	v_mul_f64 v[60:61], v[138:139], v[66:67]
	v_fma_f64 v[136:137], v[62:63], v[64:65], -v[60:61]
	v_mul_f64 v[60:61], v[62:63], v[66:67]
	v_mov_b32_e32 v147, v137
	v_fma_f64 v[78:79], v[138:139], v[64:65], v[60:61]
	v_mul_f64 v[60:61], v[134:135], v[196:197]
	v_mov_b32_e32 v146, v136
	v_fma_f64 v[60:61], v[58:59], v[194:195], -v[60:61]
	v_mul_f64 v[58:59], v[58:59], v[196:197]
	v_fma_f64 v[196:197], v[134:135], v[194:195], v[58:59]
	s_waitcnt vmcnt(0)
	v_mul_f64 v[58:59], v[132:133], v[72:73]
	v_fma_f64 v[138:139], v[56:57], v[70:71], -v[58:59]
	v_mul_f64 v[56:57], v[56:57], v[72:73]
	v_fma_f64 v[132:133], v[132:133], v[70:71], v[56:57]
	s_waitcnt lgkmcnt(3)
	v_mul_f64 v[56:57], v[128:129], v[200:201]
	v_fma_f64 v[182:183], v[52:53], v[198:199], -v[56:57]
	s_clause 0x1
	global_load_dwordx4 v[56:59], v88, s[8:9] offset:64
	global_load_dwordx4 v[62:65], v88, s[8:9] offset:80
	v_mul_f64 v[52:53], v[52:53], v[200:201]
	v_fma_f64 v[180:181], v[128:129], v[198:199], v[52:53]
	s_waitcnt vmcnt(1)
	v_mul_f64 v[52:53], v[130:131], v[58:59]
	v_fma_f64 v[134:135], v[54:55], v[56:57], -v[52:53]
	v_mul_f64 v[52:53], v[54:55], v[58:59]
	v_fma_f64 v[128:129], v[130:131], v[56:57], v[52:53]
	v_mul_f64 v[52:53], v[126:127], v[86:87]
	v_fma_f64 v[52:53], v[50:51], v[84:85], -v[52:53]
	v_mul_f64 v[50:51], v[50:51], v[86:87]
	v_fma_f64 v[198:199], v[126:127], v[84:85], v[50:51]
	s_waitcnt vmcnt(0)
	v_mul_f64 v[50:51], v[124:125], v[64:65]
	v_fma_f64 v[126:127], v[48:49], v[62:63], -v[50:51]
	v_mul_f64 v[48:49], v[48:49], v[64:65]
	v_fma_f64 v[86:87], v[124:125], v[62:63], v[48:49]
	s_waitcnt lgkmcnt(2)
	v_mul_f64 v[48:49], v[120:121], v[244:245]
	v_fma_f64 v[188:189], v[44:45], v[242:243], -v[48:49]
	s_clause 0x1
	global_load_dwordx4 v[48:51], v88, s[8:9] offset:96
	global_load_dwordx4 v[54:57], v88, s[8:9] offset:112
	v_mul_f64 v[44:45], v[44:45], v[244:245]
	v_fma_f64 v[186:187], v[120:121], v[242:243], v[44:45]
	s_waitcnt vmcnt(1)
	v_mul_f64 v[44:45], v[122:123], v[50:51]
	v_fma_f64 v[124:125], v[46:47], v[48:49], -v[44:45]
	v_mul_f64 v[44:45], v[46:47], v[50:51]
	v_fma_f64 v[120:121], v[122:123], v[48:49], v[44:45]
	v_mul_f64 v[44:45], v[118:119], v[82:83]
	v_mov_b32_e32 v122, v250
	v_mov_b32_e32 v123, v251
	v_fma_f64 v[44:45], v[42:43], v[80:81], -v[44:45]
	v_mul_f64 v[42:43], v[42:43], v[82:83]
	v_fma_f64 v[200:201], v[118:119], v[80:81], v[42:43]
	s_waitcnt vmcnt(0)
	v_mul_f64 v[42:43], v[116:117], v[56:57]
	v_fma_f64 v[118:119], v[40:41], v[54:55], -v[42:43]
	v_mul_f64 v[40:41], v[40:41], v[56:57]
	v_fma_f64 v[116:117], v[116:117], v[54:55], v[40:41]
	s_waitcnt lgkmcnt(1)
	v_mul_f64 v[40:41], v[112:113], v[248:249]
	v_fma_f64 v[194:195], v[36:37], v[246:247], -v[40:41]
	s_clause 0x1
	global_load_dwordx4 v[40:43], v88, s[8:9] offset:128
	global_load_dwordx4 v[46:49], v88, s[8:9] offset:144
	v_mul_f64 v[36:37], v[36:37], v[248:249]
	v_fma_f64 v[190:191], v[112:113], v[246:247], v[36:37]
	s_waitcnt vmcnt(1)
	v_mul_f64 v[36:37], v[114:115], v[42:43]
	v_fma_f64 v[130:131], v[38:39], v[40:41], -v[36:37]
	v_mul_f64 v[36:37], v[38:39], v[42:43]
	v_add_nc_u32_e32 v38, 0xa5, v224
	v_fma_f64 v[112:113], v[114:115], v[40:41], v[36:37]
	v_and_b32_e32 v36, 0xff, v38
	v_mov_b32_e32 v114, v170
	v_mov_b32_e32 v115, v171
	buffer_store_dword v36, off, s[36:39], 0 offset:12 ; 4-byte Folded Spill
	v_mul_lo_u16 v36, v36, 37
	v_lshrrev_b16 v36, 8, v36
	v_sub_nc_u16 v37, v38, v36
	v_lshrrev_b16 v37, 1, v37
	v_and_b32_e32 v37, 0x7f, v37
	v_add_nc_u16 v36, v37, v36
	v_lshrrev_b16 v89, 2, v36
	v_mul_lo_u16 v36, v89, 7
	v_sub_nc_u16 v80, v38, v36
	v_mul_u32_u24_sdwa v36, v80, v237 dst_sel:DWORD dst_unused:UNUSED_PAD src0_sel:BYTE_0 src1_sel:DWORD
	v_lshlrev_b32_e32 v54, 4, v36
	s_clause 0x1
	global_load_dwordx4 v[36:39], v54, s[8:9]
	global_load_dwordx4 v[40:43], v54, s[8:9] offset:16
	s_waitcnt vmcnt(1)
	v_mul_f64 v[50:51], v[94:95], v[38:39]
	v_fma_f64 v[50:51], v[18:19], v[36:37], -v[50:51]
	v_mul_f64 v[18:19], v[18:19], v[38:39]
	buffer_store_dword v50, off, s[36:39], 0 offset:152 ; 4-byte Folded Spill
	buffer_store_dword v51, off, s[36:39], 0 offset:156 ; 4-byte Folded Spill
	v_fma_f64 v[18:19], v[94:95], v[36:37], v[18:19]
	buffer_store_dword v18, off, s[36:39], 0 offset:160 ; 4-byte Folded Spill
	buffer_store_dword v19, off, s[36:39], 0 offset:164 ; 4-byte Folded Spill
	s_waitcnt vmcnt(0)
	v_mul_f64 v[18:19], v[108:109], v[42:43]
	v_fma_f64 v[18:19], v[32:33], v[40:41], -v[18:19]
	buffer_store_dword v18, off, s[36:39], 0 offset:128 ; 4-byte Folded Spill
	buffer_store_dword v19, off, s[36:39], 0 offset:132 ; 4-byte Folded Spill
	v_mul_f64 v[18:19], v[32:33], v[42:43]
	v_fma_f64 v[18:19], v[108:109], v[40:41], v[18:19]
	buffer_store_dword v18, off, s[36:39], 0 offset:136 ; 4-byte Folded Spill
	buffer_store_dword v19, off, s[36:39], 0 offset:140 ; 4-byte Folded Spill
	s_clause 0x1
	global_load_dwordx4 v[36:39], v54, s[8:9] offset:32
	global_load_dwordx4 v[40:43], v54, s[8:9] offset:48
	s_waitcnt vmcnt(1)
	v_mul_f64 v[18:19], v[110:111], v[38:39]
	v_fma_f64 v[18:19], v[34:35], v[36:37], -v[18:19]
	buffer_store_dword v18, off, s[36:39], 0 offset:112 ; 4-byte Folded Spill
	buffer_store_dword v19, off, s[36:39], 0 offset:116 ; 4-byte Folded Spill
	v_mul_f64 v[18:19], v[34:35], v[38:39]
	v_fma_f64 v[18:19], v[110:111], v[36:37], v[18:19]
	buffer_store_dword v18, off, s[36:39], 0 offset:104 ; 4-byte Folded Spill
	buffer_store_dword v19, off, s[36:39], 0 offset:108 ; 4-byte Folded Spill
	s_waitcnt vmcnt(0)
	v_mul_f64 v[18:19], v[104:105], v[42:43]
	v_fma_f64 v[18:19], v[28:29], v[40:41], -v[18:19]
	buffer_store_dword v18, off, s[36:39], 0 offset:88 ; 4-byte Folded Spill
	buffer_store_dword v19, off, s[36:39], 0 offset:92 ; 4-byte Folded Spill
	v_mul_f64 v[18:19], v[28:29], v[42:43]
	v_fma_f64 v[18:19], v[104:105], v[40:41], v[18:19]
	buffer_store_dword v18, off, s[36:39], 0 offset:64 ; 4-byte Folded Spill
	buffer_store_dword v19, off, s[36:39], 0 offset:68 ; 4-byte Folded Spill
	s_clause 0x1
	global_load_dwordx4 v[32:35], v54, s[8:9] offset:64
	global_load_dwordx4 v[36:39], v54, s[8:9] offset:80
	s_waitcnt vmcnt(1)
	v_mul_f64 v[18:19], v[106:107], v[34:35]
	v_fma_f64 v[18:19], v[30:31], v[32:33], -v[18:19]
	buffer_store_dword v18, off, s[36:39], 0 offset:72 ; 4-byte Folded Spill
	buffer_store_dword v19, off, s[36:39], 0 offset:76 ; 4-byte Folded Spill
	v_mul_f64 v[18:19], v[30:31], v[34:35]
	;; [unrolled: 21-line block ×3, first 2 shown]
	v_fma_f64 v[18:19], v[102:103], v[28:29], v[18:19]
	buffer_store_dword v18, off, s[36:39], 0 offset:40 ; 4-byte Folded Spill
	buffer_store_dword v19, off, s[36:39], 0 offset:44 ; 4-byte Folded Spill
	s_waitcnt vmcnt(0)
	v_mul_f64 v[18:19], v[96:97], v[34:35]
	v_fma_f64 v[18:19], v[20:21], v[32:33], -v[18:19]
	buffer_store_dword v18, off, s[36:39], 0 offset:120 ; 4-byte Folded Spill
	buffer_store_dword v19, off, s[36:39], 0 offset:124 ; 4-byte Folded Spill
	v_mul_f64 v[18:19], v[20:21], v[34:35]
	v_fma_f64 v[18:19], v[96:97], v[32:33], v[18:19]
	buffer_store_dword v18, off, s[36:39], 0 offset:32 ; 4-byte Folded Spill
	buffer_store_dword v19, off, s[36:39], 0 offset:36 ; 4-byte Folded Spill
	s_clause 0x1
	global_load_dwordx4 v[18:21], v54, s[8:9] offset:128
	global_load_dwordx4 v[24:27], v54, s[8:9] offset:144
	s_waitcnt vmcnt(1)
	v_mul_f64 v[28:29], v[98:99], v[20:21]
	v_mul_f64 v[20:21], v[22:23], v[20:21]
	v_fma_f64 v[28:29], v[22:23], v[18:19], -v[28:29]
	v_fma_f64 v[18:19], v[98:99], v[18:19], v[20:21]
	v_mul_f64 v[20:21], v[227:228], v[48:49]
	buffer_store_dword v28, off, s[36:39], 0 offset:144 ; 4-byte Folded Spill
	buffer_store_dword v29, off, s[36:39], 0 offset:148 ; 4-byte Folded Spill
	;; [unrolled: 1-line block ×4, first 2 shown]
	s_waitcnt lgkmcnt(0)
	v_fma_f64 v[148:149], v[231:232], v[46:47], v[20:21]
	s_waitcnt vmcnt(0)
	v_mul_f64 v[20:21], v[233:234], v[26:27]
	v_add_f64 v[28:29], v[170:171], -v[200:201]
	v_mul_f64 v[18:19], v[231:232], v[48:49]
	v_mov_b32_e32 v171, v163
	v_mov_b32_e32 v170, v162
	v_fma_f64 v[20:21], v[229:230], v[24:25], -v[20:21]
	buffer_store_dword v20, off, s[36:39], 0 offset:168 ; 4-byte Folded Spill
	buffer_store_dword v21, off, s[36:39], 0 offset:172 ; 4-byte Folded Spill
	v_mul_f64 v[20:21], v[229:230], v[26:27]
	v_mul_f64 v[30:31], v[28:29], s[10:11]
	v_fma_f64 v[18:19], v[227:228], v[46:47], -v[18:19]
	v_mul_f64 v[74:75], v[28:29], s[28:29]
	v_mul_f64 v[106:107], v[28:29], s[34:35]
	v_fma_f64 v[20:21], v[233:234], v[24:25], v[20:21]
	buffer_store_dword v20, off, s[36:39], 0 offset:16 ; 4-byte Folded Spill
	buffer_store_dword v21, off, s[36:39], 0 offset:20 ; 4-byte Folded Spill
	v_mul_f64 v[20:21], v[10:11], v[240:241]
	s_waitcnt_vscnt null, 0x0
	s_barrier
	buffer_gl0_inv
	v_fma_f64 v[20:21], v[2:3], v[238:239], v[20:21]
	v_mul_f64 v[2:3], v[2:3], v[240:241]
	v_add_f64 v[22:23], v[20:21], -v[178:179]
	v_fma_f64 v[2:3], v[10:11], v[238:239], -v[2:3]
	v_mul_f64 v[26:27], v[22:23], s[16:17]
	v_add_f64 v[10:11], v[2:3], v[225:226]
	v_fma_f64 v[24:25], v[10:11], s[4:5], -v[26:27]
	v_fma_f64 v[26:27], v[10:11], s[4:5], v[26:27]
	v_add_f64 v[32:33], v[12:13], v[24:25]
	v_add_f64 v[24:25], v[202:203], v[44:45]
	;; [unrolled: 1-line block ×3, first 2 shown]
	v_fma_f64 v[34:35], v[24:25], s[6:7], -v[30:31]
	v_fma_f64 v[30:31], v[24:25], s[6:7], v[30:31]
	v_fma_f64 v[83:84], v[24:25], s[14:15], -v[74:75]
	v_fma_f64 v[110:111], v[24:25], s[24:25], -v[106:107]
	v_add_f64 v[40:41], v[34:35], v[32:33]
	v_mul_f64 v[32:33], v[22:23], s[18:19]
	v_add_f64 v[26:27], v[30:31], v[26:27]
	v_fma_f64 v[34:35], v[10:11], s[14:15], -v[32:33]
	v_fma_f64 v[30:31], v[10:11], s[14:15], v[32:33]
	v_add_f64 v[36:37], v[12:13], v[34:35]
	v_mul_f64 v[34:35], v[28:29], s[22:23]
	v_add_f64 v[30:31], v[12:13], v[30:31]
	v_fma_f64 v[38:39], v[24:25], s[12:13], -v[34:35]
	v_fma_f64 v[32:33], v[24:25], s[12:13], v[34:35]
	v_add_f64 v[46:47], v[38:39], v[36:37]
	v_add_f64 v[38:39], v[192:193], -v[176:177]
	v_add_f64 v[36:37], v[210:211], v[208:209]
	v_add_f64 v[30:31], v[32:33], v[30:31]
	v_mul_f64 v[42:43], v[38:39], s[22:23]
	v_fma_f64 v[48:49], v[36:37], s[12:13], -v[42:43]
	v_fma_f64 v[32:33], v[36:37], s[12:13], v[42:43]
	v_add_f64 v[50:51], v[48:49], v[40:41]
	v_mul_f64 v[48:49], v[38:39], s[26:27]
	v_add_f64 v[26:27], v[32:33], v[26:27]
	v_fma_f64 v[40:41], v[36:37], s[4:5], -v[48:49]
	v_fma_f64 v[32:33], v[36:37], s[4:5], v[48:49]
	v_add_f64 v[56:57], v[40:41], v[46:47]
	v_add_f64 v[46:47], v[172:173], -v[198:199]
	v_add_f64 v[40:41], v[204:205], v[52:53]
	v_add_f64 v[30:31], v[32:33], v[30:31]
	v_mul_f64 v[54:55], v[46:47], s[28:29]
	v_fma_f64 v[58:59], v[40:41], s[14:15], -v[54:55]
	v_fma_f64 v[32:33], v[40:41], s[14:15], v[54:55]
	v_add_f64 v[64:65], v[58:59], v[50:51]
	v_mul_f64 v[58:59], v[46:47], s[30:31]
	v_add_f64 v[26:27], v[32:33], v[26:27]
	v_fma_f64 v[50:51], v[40:41], s[24:25], -v[58:59]
	v_fma_f64 v[32:33], v[40:41], s[24:25], v[58:59]
	v_add_f64 v[70:71], v[50:51], v[56:57]
	v_add_f64 v[56:57], v[196:197], -v[174:175]
	v_add_f64 v[50:51], v[60:61], v[206:207]
	v_add_f64 v[30:31], v[32:33], v[30:31]
	v_mov_b32_e32 v175, v159
	v_mov_b32_e32 v174, v158
	v_mul_f64 v[62:63], v[56:57], s[34:35]
	v_fma_f64 v[66:67], v[50:51], s[24:25], -v[62:63]
	v_fma_f64 v[32:33], v[50:51], s[24:25], v[62:63]
	v_add_f64 v[66:67], v[66:67], v[64:65]
	v_mul_f64 v[64:65], v[56:57], s[10:11]
	v_add_f64 v[26:27], v[32:33], v[26:27]
	v_fma_f64 v[72:73], v[50:51], s[6:7], -v[64:65]
	v_fma_f64 v[32:33], v[50:51], s[6:7], v[64:65]
	v_add_f64 v[104:105], v[72:73], v[70:71]
	v_mov_b32_e32 v70, 0x268
	v_mov_b32_e32 v71, 3
	v_add_f64 v[30:31], v[32:33], v[30:31]
	v_mul_u32_u24_sdwa v72, v223, v70 dst_sel:DWORD dst_unused:UNUSED_PAD src0_sel:WORD_0 src1_sel:DWORD
	v_lshlrev_b32_sdwa v73, v71, v222 dst_sel:DWORD dst_unused:UNUSED_PAD src0_sel:DWORD src1_sel:BYTE_0
	v_add3_u32 v82, 0, v72, v73
	ds_write2_b64 v82, v[66:67], v[104:105] offset0:14 offset1:21
	v_mul_f64 v[66:67], v[22:23], s[10:11]
	ds_write2_b64 v82, v[30:31], v[26:27] offset0:56 offset1:63
	v_mul_f64 v[26:27], v[28:29], s[16:17]
	v_fma_f64 v[72:73], v[10:11], s[6:7], -v[66:67]
	v_fma_f64 v[66:67], v[10:11], s[6:7], v[66:67]
	v_fma_f64 v[30:31], v[24:25], s[4:5], -v[26:27]
	v_add_f64 v[72:73], v[12:13], v[72:73]
	v_add_f64 v[66:67], v[12:13], v[66:67]
	;; [unrolled: 1-line block ×3, first 2 shown]
	v_mul_f64 v[83:84], v[22:23], s[20:21]
	v_mul_f64 v[22:23], v[22:23], s[30:31]
	v_fma_f64 v[104:105], v[10:11], s[12:13], -v[83:84]
	v_fma_f64 v[28:29], v[10:11], s[24:25], -v[22:23]
	v_add_f64 v[104:105], v[12:13], v[104:105]
	v_add_f64 v[28:29], v[12:13], v[28:29]
	;; [unrolled: 1-line block ×3, first 2 shown]
	v_mul_f64 v[110:111], v[38:39], s[30:31]
	v_add_f64 v[28:29], v[30:31], v[28:29]
	v_mul_f64 v[30:31], v[38:39], s[18:19]
	v_fma_f64 v[222:223], v[36:37], s[24:25], -v[110:111]
	v_fma_f64 v[32:33], v[36:37], s[14:15], -v[30:31]
	v_add_f64 v[72:73], v[222:223], v[72:73]
	v_mul_f64 v[222:223], v[38:39], s[10:11]
	v_add_f64 v[28:29], v[32:33], v[28:29]
	v_mul_f64 v[32:33], v[46:47], s[10:11]
	v_fma_f64 v[227:228], v[36:37], s[6:7], -v[222:223]
	v_fma_f64 v[34:35], v[40:41], s[6:7], -v[32:33]
	v_add_f64 v[104:105], v[227:228], v[104:105]
	;; [unrolled: 6-line block ×3, first 2 shown]
	v_mul_f64 v[229:230], v[46:47], s[26:27]
	v_add_f64 v[28:29], v[38:39], v[28:29]
	v_add_f64 v[38:39], v[12:13], v[2:3]
	v_fma_f64 v[231:232], v[40:41], s[4:5], -v[229:230]
	v_add_f64 v[38:39], v[38:39], v[202:203]
	v_add_f64 v[104:105], v[231:232], v[104:105]
	v_mul_f64 v[231:232], v[56:57], s[26:27]
	v_add_f64 v[38:39], v[38:39], v[210:211]
	v_fma_f64 v[233:234], v[50:51], s[4:5], -v[231:232]
	v_add_f64 v[38:39], v[38:39], v[204:205]
	v_add_f64 v[72:73], v[233:234], v[72:73]
	v_mul_f64 v[233:234], v[56:57], s[18:19]
	v_add_f64 v[38:39], v[38:39], v[60:61]
	v_fma_f64 v[237:238], v[50:51], s[14:15], -v[233:234]
	v_add_f64 v[38:39], v[38:39], v[206:207]
	v_add_f64 v[104:105], v[237:238], v[104:105]
	;; [unrolled: 1-line block ×3, first 2 shown]
	ds_write2_b64 v82, v[72:73], v[104:105] offset0:28 offset1:35
	v_fma_f64 v[72:73], v[24:25], s[14:15], v[74:75]
	v_fma_f64 v[74:75], v[24:25], s[24:25], v[106:107]
	v_add_f64 v[38:39], v[38:39], v[208:209]
	v_add_f64 v[66:67], v[72:73], v[66:67]
	v_fma_f64 v[72:73], v[10:11], s[12:13], v[83:84]
	v_add_f64 v[38:39], v[38:39], v[44:45]
	v_fma_f64 v[10:11], v[10:11], s[24:25], v[22:23]
	v_fma_f64 v[22:23], v[24:25], s[4:5], v[26:27]
	;; [unrolled: 1-line block ×4, first 2 shown]
	v_add_f64 v[72:73], v[12:13], v[72:73]
	v_add_f64 v[38:39], v[38:39], v[225:226]
	;; [unrolled: 1-line block ×3, first 2 shown]
	v_add_f64 v[12:13], v[216:217], -v[252:253]
	v_add_f64 v[72:73], v[74:75], v[72:73]
	v_fma_f64 v[74:75], v[36:37], s[24:25], v[110:111]
	ds_write2_b64 v82, v[38:39], v[28:29] offset1:7
	v_fma_f64 v[28:29], v[50:51], s[12:13], v[34:35]
	v_add_f64 v[10:11], v[22:23], v[10:11]
	v_add_f64 v[22:23], v[220:221], v[218:219]
	v_mul_f64 v[30:31], v[12:13], s[16:17]
	v_add_f64 v[66:67], v[74:75], v[66:67]
	v_fma_f64 v[74:75], v[36:37], s[6:7], v[222:223]
	v_add_f64 v[36:37], v[250:251], v[194:195]
	v_add_f64 v[10:11], v[24:25], v[10:11]
	v_fma_f64 v[32:33], v[22:23], s[4:5], -v[30:31]
	v_add_f64 v[72:73], v[74:75], v[72:73]
	v_fma_f64 v[74:75], v[40:41], s[12:13], v[227:228]
	v_add_f64 v[10:11], v[26:27], v[10:11]
	v_add_f64 v[32:33], v[14:15], v[32:33]
	;; [unrolled: 1-line block ×3, first 2 shown]
	v_fma_f64 v[74:75], v[40:41], s[4:5], v[229:230]
	v_add_f64 v[10:11], v[28:29], v[10:11]
	v_add_f64 v[72:73], v[74:75], v[72:73]
	v_fma_f64 v[74:75], v[50:51], s[4:5], v[231:232]
	v_add_f64 v[66:67], v[74:75], v[66:67]
	v_fma_f64 v[74:75], v[50:51], s[14:15], v[233:234]
	v_add_f64 v[72:73], v[74:75], v[72:73]
	ds_write2_b64 v82, v[72:73], v[66:67] offset0:42 offset1:49
	buffer_store_dword v168, off, s[36:39], 0 offset:208 ; 4-byte Folded Spill
	buffer_store_dword v169, off, s[36:39], 0 offset:212 ; 4-byte Folded Spill
	;; [unrolled: 1-line block ×10, first 2 shown]
	ds_write_b64 v82, v[10:11] offset:560
	v_mul_u32_u24_sdwa v10, v235, v70 dst_sel:DWORD dst_unused:UNUSED_PAD src0_sel:WORD_0 src1_sel:DWORD
	v_lshlrev_b32_sdwa v11, v71, v236 dst_sel:DWORD dst_unused:UNUSED_PAD src0_sel:DWORD src1_sel:BYTE_0
	v_add3_u32 v83, 0, v10, v11
	v_mul_f64 v[10:11], v[12:13], s[10:11]
	v_add_f64 v[34:35], v[168:169], -v[190:191]
	v_add_f64 v[24:25], v[142:143], -v[152:153]
	;; [unrolled: 1-line block ×4, first 2 shown]
	v_mov_b32_e32 v152, v165
	v_mov_b32_e32 v153, v166
	;; [unrolled: 1-line block ×6, first 2 shown]
	v_mul_f64 v[38:39], v[34:35], s[10:11]
	v_mul_f64 v[46:47], v[34:35], s[22:23]
	v_mul_f64 v[50:51], v[24:25], s[22:23]
	v_mul_f64 v[58:59], v[26:27], s[28:29]
	v_mul_f64 v[66:67], v[28:29], s[34:35]
	v_mul_f64 v[104:105], v[34:35], s[34:35]
	v_fma_f64 v[40:41], v[36:37], s[6:7], -v[38:39]
	v_fma_f64 v[48:49], v[36:37], s[12:13], -v[46:47]
	v_fma_f64 v[106:107], v[36:37], s[24:25], -v[104:105]
	v_add_f64 v[32:33], v[40:41], v[32:33]
	v_mul_f64 v[40:41], v[12:13], s[18:19]
	v_fma_f64 v[42:43], v[22:23], s[14:15], -v[40:41]
	v_add_f64 v[42:43], v[14:15], v[42:43]
	v_add_f64 v[42:43], v[48:49], v[42:43]
	;; [unrolled: 1-line block ×3, first 2 shown]
	v_fma_f64 v[54:55], v[48:49], s[12:13], -v[50:51]
	v_add_f64 v[32:33], v[54:55], v[32:33]
	v_mul_f64 v[54:55], v[24:25], s[26:27]
	v_fma_f64 v[56:57], v[48:49], s[4:5], -v[54:55]
	v_add_f64 v[42:43], v[56:57], v[42:43]
	v_add_f64 v[56:57], v[165:166], v[188:189]
	v_fma_f64 v[62:63], v[56:57], s[14:15], -v[58:59]
	v_add_f64 v[32:33], v[62:63], v[32:33]
	v_mul_f64 v[62:63], v[26:27], s[30:31]
	v_fma_f64 v[64:65], v[56:57], s[24:25], -v[62:63]
	v_add_f64 v[42:43], v[64:65], v[42:43]
	v_add_f64 v[64:65], v[182:183], v[162:163]
	v_fma_f64 v[72:73], v[64:65], s[24:25], -v[66:67]
	v_add_f64 v[32:33], v[72:73], v[32:33]
	v_mul_f64 v[72:73], v[28:29], s[10:11]
	v_fma_f64 v[74:75], v[64:65], s[6:7], -v[72:73]
	v_add_f64 v[42:43], v[74:75], v[42:43]
	ds_write2_b64 v83, v[32:33], v[42:43] offset0:14 offset1:21
	v_fma_f64 v[32:33], v[22:23], s[6:7], -v[10:11]
	v_mul_f64 v[42:43], v[34:35], s[28:29]
	v_fma_f64 v[10:11], v[22:23], s[6:7], v[10:11]
	v_add_f64 v[32:33], v[14:15], v[32:33]
	v_fma_f64 v[74:75], v[36:37], s[14:15], -v[42:43]
	v_add_f64 v[10:11], v[14:15], v[10:11]
	v_add_f64 v[32:33], v[74:75], v[32:33]
	v_mul_f64 v[74:75], v[12:13], s[20:21]
	v_fma_f64 v[84:85], v[22:23], s[12:13], -v[74:75]
	v_add_f64 v[84:85], v[14:15], v[84:85]
	v_add_f64 v[84:85], v[106:107], v[84:85]
	v_mul_f64 v[106:107], v[24:25], s[30:31]
	v_fma_f64 v[110:111], v[48:49], s[24:25], -v[106:107]
	v_add_f64 v[32:33], v[110:111], v[32:33]
	v_mul_f64 v[110:111], v[24:25], s[10:11]
	v_mul_f64 v[24:25], v[24:25], s[18:19]
	v_fma_f64 v[222:223], v[48:49], s[6:7], -v[110:111]
	v_add_f64 v[84:85], v[222:223], v[84:85]
	v_mul_f64 v[222:223], v[26:27], s[20:21]
	v_fma_f64 v[227:228], v[56:57], s[12:13], -v[222:223]
	v_add_f64 v[32:33], v[227:228], v[32:33]
	v_mul_f64 v[227:228], v[26:27], s[26:27]
	v_mul_f64 v[26:27], v[26:27], s[10:11]
	v_fma_f64 v[229:230], v[56:57], s[4:5], -v[227:228]
	;; [unrolled: 7-line block ×3, first 2 shown]
	v_add_f64 v[84:85], v[233:234], v[84:85]
	ds_write2_b64 v83, v[32:33], v[84:85] offset0:28 offset1:35
	v_fma_f64 v[32:33], v[36:37], s[14:15], v[42:43]
	v_fma_f64 v[42:43], v[36:37], s[24:25], v[104:105]
	v_add_f64 v[10:11], v[32:33], v[10:11]
	v_fma_f64 v[32:33], v[22:23], s[12:13], v[74:75]
	v_add_f64 v[32:33], v[14:15], v[32:33]
	v_add_f64 v[32:33], v[42:43], v[32:33]
	v_fma_f64 v[42:43], v[48:49], s[24:25], v[106:107]
	v_add_f64 v[10:11], v[42:43], v[10:11]
	v_fma_f64 v[42:43], v[48:49], s[6:7], v[110:111]
	;; [unrolled: 2-line block ×6, first 2 shown]
	v_add_f64 v[32:33], v[42:43], v[32:33]
	ds_write2_b64 v83, v[32:33], v[10:11] offset0:42 offset1:49
	v_fma_f64 v[10:11], v[22:23], s[4:5], v[30:31]
	v_fma_f64 v[30:31], v[36:37], s[6:7], v[38:39]
	;; [unrolled: 1-line block ×3, first 2 shown]
	v_add_f64 v[38:39], v[214:215], v[18:19]
	v_add_f64 v[10:11], v[14:15], v[10:11]
	;; [unrolled: 1-line block ×3, first 2 shown]
	v_fma_f64 v[30:31], v[22:23], s[14:15], v[40:41]
	v_add_f64 v[30:31], v[14:15], v[30:31]
	v_add_f64 v[30:31], v[32:33], v[30:31]
	v_fma_f64 v[32:33], v[48:49], s[12:13], v[50:51]
	v_add_f64 v[10:11], v[32:33], v[10:11]
	v_fma_f64 v[32:33], v[48:49], s[4:5], v[54:55]
	;; [unrolled: 2-line block ×6, first 2 shown]
	v_add_f64 v[30:31], v[32:33], v[30:31]
	ds_write2_b64 v83, v[30:31], v[10:11] offset0:56 offset1:63
	v_mul_f64 v[10:11], v[12:13], s[30:31]
	v_fma_f64 v[12:13], v[22:23], s[24:25], -v[10:11]
	v_fma_f64 v[10:11], v[22:23], s[24:25], v[10:11]
	v_mul_f64 v[22:23], v[34:35], s[16:17]
	v_add_f64 v[12:13], v[14:15], v[12:13]
	v_add_f64 v[10:11], v[14:15], v[10:11]
	;; [unrolled: 1-line block ×3, first 2 shown]
	v_fma_f64 v[30:31], v[36:37], s[4:5], -v[22:23]
	v_fma_f64 v[22:23], v[36:37], s[4:5], v[22:23]
	v_add_f64 v[14:15], v[14:15], v[250:251]
	v_add_f64 v[12:13], v[30:31], v[12:13]
	v_fma_f64 v[30:31], v[48:49], s[14:15], -v[24:25]
	v_add_f64 v[10:11], v[22:23], v[10:11]
	v_fma_f64 v[24:25], v[48:49], s[14:15], v[24:25]
	v_add_f64 v[48:49], v[90:91], v[130:131]
	v_add_f64 v[14:15], v[14:15], v[184:185]
	;; [unrolled: 1-line block ×3, first 2 shown]
	v_fma_f64 v[30:31], v[56:57], s[6:7], -v[26:27]
	v_add_f64 v[10:11], v[24:25], v[10:11]
	v_fma_f64 v[26:27], v[56:57], s[6:7], v[26:27]
	v_add_f64 v[14:15], v[14:15], v[165:166]
	v_mov_b32_e32 v167, v131
	v_mov_b32_e32 v166, v130
	v_add_f64 v[12:13], v[30:31], v[12:13]
	v_fma_f64 v[30:31], v[64:65], s[12:13], -v[28:29]
	v_add_f64 v[10:11], v[26:27], v[10:11]
	v_fma_f64 v[28:29], v[64:65], s[12:13], v[28:29]
	v_add_f64 v[14:15], v[14:15], v[182:183]
	v_add_f64 v[12:13], v[30:31], v[12:13]
	;; [unrolled: 1-line block ×4, first 2 shown]
	v_mov_b32_e32 v163, v125
	v_mov_b32_e32 v162, v124
	v_add_f64 v[14:15], v[14:15], v[188:189]
	v_add_f64 v[14:15], v[14:15], v[158:159]
	v_mov_b32_e32 v159, v119
	v_mov_b32_e32 v158, v118
	v_add_f64 v[14:15], v[14:15], v[194:195]
	v_add_f64 v[14:15], v[14:15], v[218:219]
	ds_write2_b64 v83, v[14:15], v[12:13] offset1:7
	buffer_store_dword v76, off, s[36:39], 0 offset:176 ; 4-byte Folded Spill
	buffer_store_dword v77, off, s[36:39], 0 offset:180 ; 4-byte Folded Spill
	;; [unrolled: 1-line block ×12, first 2 shown]
	v_add_f64 v[12:13], v[212:213], -v[148:149]
	buffer_store_dword v128, off, s[36:39], 0 offset:256 ; 4-byte Folded Spill
	buffer_store_dword v129, off, s[36:39], 0 offset:260 ; 4-byte Folded Spill
	;; [unrolled: 1-line block ×4, first 2 shown]
	ds_write_b64 v83, v[10:11] offset:560
	v_mul_u32_u24_sdwa v10, v68, v70 dst_sel:DWORD dst_unused:UNUSED_PAD src0_sel:WORD_0 src1_sel:DWORD
	v_lshlrev_b32_sdwa v11, v71, v69 dst_sel:DWORD dst_unused:UNUSED_PAD src0_sel:DWORD src1_sel:BYTE_0
	v_add3_u32 v84, 0, v10, v11
	v_mul_f64 v[30:31], v[12:13], s[16:17]
	v_mul_f64 v[34:35], v[12:13], s[10:11]
	;; [unrolled: 1-line block ×5, first 2 shown]
	v_fma_f64 v[42:43], v[38:39], s[4:5], -v[30:31]
	v_fma_f64 v[50:51], v[38:39], s[6:7], -v[34:35]
	v_fma_f64 v[40:41], v[38:39], s[24:25], -v[14:15]
	v_fma_f64 v[14:15], v[38:39], s[24:25], v[14:15]
	v_fma_f64 v[30:31], v[38:39], s[4:5], v[30:31]
	v_fma_f64 v[46:47], v[38:39], s[14:15], -v[32:33]
	v_fma_f64 v[32:33], v[38:39], s[14:15], v[32:33]
	v_fma_f64 v[34:35], v[38:39], s[6:7], v[34:35]
	v_fma_f64 v[54:55], v[38:39], s[12:13], -v[12:13]
	v_fma_f64 v[12:13], v[38:39], s[12:13], v[12:13]
	v_add_f64 v[38:39], v[8:9], v[42:43]
	v_add_f64 v[42:43], v[8:9], v[50:51]
	;; [unrolled: 1-line block ×14, first 2 shown]
	v_add_f64 v[22:23], v[76:77], -v[112:113]
	v_add_f64 v[24:25], v[78:79], -v[116:117]
	v_add_f64 v[26:27], v[132:133], -v[120:121]
	v_add_f64 v[28:29], v[128:129], -v[86:87]
	v_mul_f64 v[50:51], v[22:23], s[16:17]
	v_mul_f64 v[56:57], v[24:25], s[18:19]
	;; [unrolled: 1-line block ×4, first 2 shown]
	v_fma_f64 v[54:55], v[48:49], s[4:5], -v[50:51]
	v_add_f64 v[36:37], v[54:55], v[36:37]
	v_add_f64 v[54:55], v[136:137], v[118:119]
	v_fma_f64 v[58:59], v[54:55], s[14:15], -v[56:57]
	v_add_f64 v[36:37], v[58:59], v[36:37]
	v_add_f64 v[58:59], v[138:139], v[124:125]
	;; [unrolled: 3-line block ×3, first 2 shown]
	buffer_store_dword v134, off, s[36:39], 0 offset:272 ; 4-byte Folded Spill
	buffer_store_dword v135, off, s[36:39], 0 offset:276 ; 4-byte Folded Spill
	;; [unrolled: 1-line block ×4, first 2 shown]
	v_fma_f64 v[72:73], v[64:65], s[12:13], -v[66:67]
	v_add_f64 v[36:37], v[72:73], v[36:37]
	v_add_f64 v[8:9], v[8:9], v[134:135]
	v_add_f64 v[8:9], v[8:9], v[126:127]
	v_add_f64 v[8:9], v[8:9], v[124:125]
	v_add_f64 v[8:9], v[8:9], v[118:119]
	v_add_f64 v[8:9], v[8:9], v[130:131]
	v_add_f64 v[8:9], v[8:9], v[18:19]
	ds_write2_b64 v84, v[8:9], v[36:37] offset1:7
	v_mul_f64 v[8:9], v[22:23], s[10:11]
	v_mul_f64 v[36:37], v[22:23], s[22:23]
	v_fma_f64 v[10:11], v[48:49], s[6:7], -v[8:9]
	v_fma_f64 v[8:9], v[48:49], s[6:7], v[8:9]
	v_add_f64 v[10:11], v[10:11], v[38:39]
	v_fma_f64 v[38:39], v[48:49], s[12:13], -v[36:37]
	v_add_f64 v[8:9], v[8:9], v[30:31]
	v_add_f64 v[38:39], v[38:39], v[40:41]
	v_mul_f64 v[40:41], v[24:25], s[22:23]
	v_fma_f64 v[68:69], v[54:55], s[12:13], -v[40:41]
	v_add_f64 v[10:11], v[68:69], v[10:11]
	v_mul_f64 v[68:69], v[24:25], s[26:27]
	v_fma_f64 v[72:73], v[54:55], s[4:5], -v[68:69]
	;; [unrolled: 3-line block ×6, first 2 shown]
	v_add_f64 v[38:39], v[110:111], v[38:39]
	ds_write2_b64 v84, v[10:11], v[38:39] offset0:14 offset1:21
	v_mul_f64 v[10:11], v[22:23], s[28:29]
	v_mul_f64 v[22:23], v[22:23], s[34:35]
	v_fma_f64 v[38:39], v[48:49], s[14:15], -v[10:11]
	v_fma_f64 v[10:11], v[48:49], s[14:15], v[10:11]
	v_add_f64 v[38:39], v[38:39], v[42:43]
	v_fma_f64 v[42:43], v[48:49], s[24:25], -v[22:23]
	v_fma_f64 v[22:23], v[48:49], s[24:25], v[22:23]
	v_add_f64 v[10:11], v[10:11], v[34:35]
	v_add_f64 v[42:43], v[42:43], v[46:47]
	v_mul_f64 v[46:47], v[24:25], s[30:31]
	v_mul_f64 v[24:25], v[24:25], s[10:11]
	v_add_f64 v[12:13], v[22:23], v[12:13]
	v_fma_f64 v[110:111], v[54:55], s[24:25], -v[46:47]
	v_fma_f64 v[22:23], v[54:55], s[24:25], v[46:47]
	v_add_f64 v[38:39], v[110:111], v[38:39]
	v_fma_f64 v[110:111], v[54:55], s[6:7], -v[24:25]
	v_add_f64 v[10:11], v[22:23], v[10:11]
	v_fma_f64 v[22:23], v[54:55], s[6:7], v[24:25]
	v_add_f64 v[42:43], v[110:111], v[42:43]
	v_mul_f64 v[110:111], v[26:27], s[20:21]
	v_mul_f64 v[26:27], v[26:27], s[26:27]
	v_add_f64 v[12:13], v[22:23], v[12:13]
	v_fma_f64 v[222:223], v[58:59], s[12:13], -v[110:111]
	v_fma_f64 v[22:23], v[58:59], s[12:13], v[110:111]
	v_add_f64 v[38:39], v[222:223], v[38:39]
	v_fma_f64 v[222:223], v[58:59], s[4:5], -v[26:27]
	v_add_f64 v[10:11], v[22:23], v[10:11]
	v_fma_f64 v[22:23], v[58:59], s[4:5], v[26:27]
	v_add_f64 v[42:43], v[222:223], v[42:43]
	v_mul_f64 v[222:223], v[28:29], s[26:27]
	v_mul_f64 v[28:29], v[28:29], s[18:19]
	v_add_f64 v[12:13], v[22:23], v[12:13]
	v_fma_f64 v[22:23], v[64:65], s[4:5], v[222:223]
	v_fma_f64 v[227:228], v[64:65], s[4:5], -v[222:223]
	v_add_f64 v[10:11], v[22:23], v[10:11]
	v_fma_f64 v[22:23], v[64:65], s[14:15], v[28:29]
	v_add_f64 v[38:39], v[227:228], v[38:39]
	v_fma_f64 v[227:228], v[64:65], s[14:15], -v[28:29]
	v_add_f64 v[12:13], v[22:23], v[12:13]
	v_add_f64 v[42:43], v[227:228], v[42:43]
	ds_write2_b64 v84, v[12:13], v[10:11] offset0:42 offset1:49
	v_fma_f64 v[10:11], v[48:49], s[12:13], v[36:37]
	v_fma_f64 v[12:13], v[54:55], s[12:13], v[40:41]
	ds_write2_b64 v84, v[38:39], v[42:43] offset0:28 offset1:35
	v_add_f64 v[10:11], v[10:11], v[32:33]
	v_add_f64 v[8:9], v[12:13], v[8:9]
	v_fma_f64 v[12:13], v[54:55], s[4:5], v[68:69]
	v_add_f64 v[10:11], v[12:13], v[10:11]
	v_fma_f64 v[12:13], v[58:59], s[14:15], v[72:73]
	;; [unrolled: 2-line block ×5, first 2 shown]
	v_add_f64 v[10:11], v[12:13], v[10:11]
	ds_write2_b64 v84, v[10:11], v[8:9] offset0:56 offset1:63
	v_fma_f64 v[8:9], v[48:49], s[4:5], v[50:51]
	v_fma_f64 v[10:11], v[54:55], s[14:15], v[56:57]
	v_add_f64 v[8:9], v[8:9], v[14:15]
	v_add_f64 v[8:9], v[10:11], v[8:9]
	v_fma_f64 v[10:11], v[58:59], s[6:7], v[62:63]
	v_add_f64 v[8:9], v[10:11], v[8:9]
	v_fma_f64 v[10:11], v[64:65], s[12:13], v[66:67]
	v_add_f64 v[8:9], v[10:11], v[8:9]
	ds_write_b64 v84, v[8:9] offset:560
	s_and_saveexec_b32 s1, s0
	s_cbranch_execz .LBB0_17
; %bb.16:
	s_clause 0x3
	buffer_load_dword v8, off, s[36:39], 0 offset:16
	buffer_load_dword v9, off, s[36:39], 0 offset:20
	;; [unrolled: 1-line block ×4, first 2 shown]
	s_waitcnt vmcnt(0)
	v_add_f64 v[8:9], v[10:11], -v[8:9]
	s_clause 0xb
	buffer_load_dword v10, off, s[36:39], 0 offset:24
	buffer_load_dword v11, off, s[36:39], 0 offset:28
	buffer_load_dword v12, off, s[36:39], 0 offset:136
	buffer_load_dword v13, off, s[36:39], 0 offset:140
	buffer_load_dword v98, off, s[36:39], 0 offset:152
	buffer_load_dword v99, off, s[36:39], 0 offset:156
	buffer_load_dword v100, off, s[36:39], 0 offset:168
	buffer_load_dword v101, off, s[36:39], 0 offset:172
	buffer_load_dword v94, off, s[36:39], 0 offset:128
	buffer_load_dword v95, off, s[36:39], 0 offset:132
	buffer_load_dword v96, off, s[36:39], 0 offset:144
	buffer_load_dword v97, off, s[36:39], 0 offset:148
	v_mul_f64 v[14:15], v[8:9], s[20:21]
	v_mul_f64 v[22:23], v[8:9], s[10:11]
	;; [unrolled: 1-line block ×5, first 2 shown]
	s_waitcnt vmcnt(8)
	v_add_f64 v[10:11], v[12:13], -v[10:11]
	s_waitcnt vmcnt(4)
	v_add_f64 v[12:13], v[98:99], v[100:101]
	s_waitcnt vmcnt(0)
	v_add_f64 v[46:47], v[94:95], v[96:97]
	v_mul_f64 v[28:29], v[10:11], s[34:35]
	v_mul_f64 v[30:31], v[10:11], s[28:29]
	;; [unrolled: 1-line block ×3, first 2 shown]
	v_fma_f64 v[34:35], v[12:13], s[12:13], v[14:15]
	v_fma_f64 v[14:15], v[12:13], s[12:13], -v[14:15]
	v_fma_f64 v[36:37], v[12:13], s[6:7], v[22:23]
	v_fma_f64 v[22:23], v[12:13], s[6:7], -v[22:23]
	v_fma_f64 v[38:39], v[12:13], s[14:15], -v[24:25]
	;; [unrolled: 1-line block ×3, first 2 shown]
	v_fma_f64 v[24:25], v[12:13], s[14:15], v[24:25]
	v_fma_f64 v[26:27], v[12:13], s[4:5], v[26:27]
	v_fma_f64 v[42:43], v[12:13], s[24:25], -v[8:9]
	v_fma_f64 v[8:9], v[12:13], s[24:25], v[8:9]
	v_mul_f64 v[12:13], v[10:11], s[10:11]
	v_mul_f64 v[10:11], v[10:11], s[16:17]
	v_fma_f64 v[48:49], v[46:47], s[24:25], v[28:29]
	v_fma_f64 v[28:29], v[46:47], s[24:25], -v[28:29]
	v_fma_f64 v[50:51], v[46:47], s[14:15], v[30:31]
	v_fma_f64 v[30:31], v[46:47], s[14:15], -v[30:31]
	;; [unrolled: 2-line block ×3, first 2 shown]
	v_add_f64 v[22:23], v[16:17], v[22:23]
	v_add_f64 v[34:35], v[16:17], v[34:35]
	;; [unrolled: 1-line block ×6, first 2 shown]
	v_fma_f64 v[56:57], v[46:47], s[6:7], v[12:13]
	v_fma_f64 v[12:13], v[46:47], s[6:7], -v[12:13]
	v_fma_f64 v[58:59], v[46:47], s[4:5], v[10:11]
	v_fma_f64 v[10:11], v[46:47], s[4:5], -v[10:11]
	s_clause 0x7
	buffer_load_dword v46, off, s[36:39], 0 offset:32
	buffer_load_dword v47, off, s[36:39], 0 offset:36
	;; [unrolled: 1-line block ×8, first 2 shown]
	v_add_f64 v[22:23], v[30:31], v[22:23]
	v_add_f64 v[30:31], v[16:17], v[38:39]
	;; [unrolled: 1-line block ×16, first 2 shown]
	s_waitcnt vmcnt(2)
	v_add_f64 v[16:17], v[16:17], v[87:88]
	v_add_f64 v[46:47], v[62:63], -v[46:47]
	s_waitcnt vmcnt(0)
	v_add_f64 v[72:73], v[87:88], v[90:91]
	v_mul_f64 v[62:63], v[46:47], s[10:11]
	v_mul_f64 v[64:65], v[46:47], s[30:31]
	v_mul_f64 v[66:67], v[46:47], s[26:27]
	v_mul_f64 v[68:69], v[46:47], s[22:23]
	v_mul_f64 v[46:47], v[46:47], s[18:19]
	v_fma_f64 v[74:75], v[72:73], s[6:7], v[62:63]
	v_fma_f64 v[62:63], v[72:73], s[6:7], -v[62:63]
	v_fma_f64 v[104:105], v[72:73], s[24:25], v[64:65]
	v_fma_f64 v[64:65], v[72:73], s[24:25], -v[64:65]
	v_fma_f64 v[106:107], v[72:73], s[4:5], v[66:67]
	v_fma_f64 v[66:67], v[72:73], s[4:5], -v[66:67]
	v_fma_f64 v[110:111], v[72:73], s[12:13], v[68:69]
	v_fma_f64 v[68:69], v[72:73], s[12:13], -v[68:69]
	v_fma_f64 v[222:223], v[72:73], s[14:15], v[46:47]
	v_fma_f64 v[46:47], v[72:73], s[14:15], -v[46:47]
	v_add_f64 v[32:33], v[74:75], v[34:35]
	s_clause 0x7
	buffer_load_dword v34, off, s[36:39], 0 offset:40
	buffer_load_dword v35, off, s[36:39], 0 offset:44
	;; [unrolled: 1-line block ×8, first 2 shown]
	v_add_f64 v[14:15], v[62:63], v[14:15]
	v_add_f64 v[22:23], v[64:65], v[22:23]
	;; [unrolled: 1-line block ×9, first 2 shown]
	s_waitcnt vmcnt(2)
	v_add_f64 v[16:17], v[16:17], v[78:79]
	v_add_f64 v[34:35], v[36:37], -v[34:35]
	s_waitcnt vmcnt(0)
	v_add_f64 v[48:49], v[78:79], v[85:86]
	v_mul_f64 v[36:37], v[34:35], s[26:27]
	v_mul_f64 v[38:39], v[34:35], s[20:21]
	;; [unrolled: 1-line block ×5, first 2 shown]
	v_fma_f64 v[50:51], v[48:49], s[4:5], v[36:37]
	v_fma_f64 v[36:37], v[48:49], s[4:5], -v[36:37]
	v_fma_f64 v[54:55], v[48:49], s[12:13], v[38:39]
	v_fma_f64 v[38:39], v[48:49], s[12:13], -v[38:39]
	v_fma_f64 v[56:57], v[48:49], s[24:25], -v[40:41]
	v_fma_f64 v[40:41], v[48:49], s[24:25], v[40:41]
	v_fma_f64 v[58:59], v[48:49], s[14:15], -v[42:43]
	v_fma_f64 v[42:43], v[48:49], s[14:15], v[42:43]
	;; [unrolled: 2-line block ×3, first 2 shown]
	v_add_f64 v[32:33], v[50:51], v[32:33]
	v_add_f64 v[14:15], v[36:37], v[14:15]
	v_add_f64 v[28:29], v[54:55], v[28:29]
	v_add_f64 v[22:23], v[38:39], v[22:23]
	s_clause 0x7
	buffer_load_dword v36, off, s[36:39], 0 offset:48
	buffer_load_dword v37, off, s[36:39], 0 offset:52
	;; [unrolled: 1-line block ×8, first 2 shown]
	v_add_f64 v[30:31], v[56:57], v[30:31]
	v_add_f64 v[12:13], v[58:59], v[12:13]
	;; [unrolled: 1-line block ×6, first 2 shown]
	v_mul_u32_u24_sdwa v34, v89, v70 dst_sel:DWORD dst_unused:UNUSED_PAD src0_sel:WORD_0 src1_sel:DWORD
	v_lshlrev_b32_sdwa v35, v71, v80 dst_sel:DWORD dst_unused:UNUSED_PAD src0_sel:DWORD src1_sel:BYTE_0
	v_add3_u32 v34, 0, v34, v35
	s_waitcnt vmcnt(2)
	v_add_f64 v[16:17], v[16:17], v[74:75]
	v_add_f64 v[36:37], v[38:39], -v[36:37]
	s_waitcnt vmcnt(0)
	v_add_f64 v[54:55], v[74:75], v[76:77]
	v_add_f64 v[16:17], v[16:17], v[76:77]
	v_mul_f64 v[48:49], v[36:37], s[10:11]
	v_mul_f64 v[50:51], v[36:37], s[34:35]
	;; [unrolled: 1-line block ×5, first 2 shown]
	v_add_f64 v[16:17], v[16:17], v[85:86]
	v_fma_f64 v[66:67], v[54:55], s[6:7], -v[48:49]
	v_fma_f64 v[68:69], v[54:55], s[24:25], -v[50:51]
	v_fma_f64 v[56:57], v[54:55], s[14:15], v[38:39]
	v_fma_f64 v[38:39], v[54:55], s[14:15], -v[38:39]
	v_fma_f64 v[64:65], v[54:55], s[4:5], v[46:47]
	;; [unrolled: 2-line block ×3, first 2 shown]
	v_fma_f64 v[50:51], v[54:55], s[24:25], v[50:51]
	v_fma_f64 v[72:73], v[54:55], s[12:13], -v[36:37]
	v_fma_f64 v[36:37], v[54:55], s[12:13], v[36:37]
	v_add_f64 v[16:17], v[16:17], v[90:91]
	v_add_f64 v[30:31], v[66:67], v[30:31]
	v_add_f64 v[12:13], v[68:69], v[12:13]
	v_add_f64 v[32:33], v[56:57], v[32:33]
	v_add_f64 v[14:15], v[38:39], v[14:15]
	v_add_f64 v[28:29], v[64:65], v[28:29]
	v_add_f64 v[22:23], v[46:47], v[22:23]
	v_add_f64 v[24:25], v[48:49], v[24:25]
	v_add_f64 v[26:27], v[50:51], v[26:27]
	v_add_f64 v[10:11], v[72:73], v[10:11]
	v_add_f64 v[8:9], v[36:37], v[8:9]
	v_add_f64 v[16:17], v[16:17], v[96:97]
	v_add_f64 v[16:17], v[16:17], v[100:101]
	ds_write2_b64 v34, v[12:13], v[30:31] offset0:14 offset1:21
	ds_write2_b64 v34, v[22:23], v[14:15] offset0:28 offset1:35
	;; [unrolled: 1-line block ×4, first 2 shown]
	ds_write2_b64 v34, v[16:17], v[10:11] offset1:7
	ds_write_b64 v34, v[8:9] offset:560
.LBB0_17:
	s_or_b32 exec_lo, exec_lo, s1
	v_add_f64 v[2:3], v[2:3], -v[225:226]
	v_add_f64 v[8:9], v[220:221], -v[218:219]
	v_add_f64 v[22:23], v[20:21], v[178:179]
	v_add_f64 v[40:41], v[216:217], v[252:253]
	v_mov_b32_e32 v172, v252
	v_add_f64 v[72:73], v[4:5], v[20:21]
	v_add_f64 v[231:232], v[6:7], v[216:217]
	v_mov_b32_e32 v173, v253
	v_add_f64 v[100:101], v[202:203], -v[44:45]
	v_add_f64 v[210:211], v[210:211], -v[208:209]
	v_add_f64 v[96:97], v[114:115], v[200:201]
	v_add_f64 v[253:254], v[0:1], v[212:213]
	;; [unrolled: 1-line block ×3, first 2 shown]
	v_add_f64 v[108:109], v[204:205], -v[52:53]
	v_mov_b32_e32 v150, v176
	v_add_f64 v[136:137], v[140:141], v[198:199]
	v_mov_b32_e32 v151, v177
	v_add_f64 v[112:113], v[60:61], -v[206:207]
	v_add_f64 v[132:133], v[196:197], v[144:145]
	v_add_nc_u32_e32 v202, 0x800, v255
	v_add_nc_u32_e32 v81, 0x1800, v255
	s_waitcnt lgkmcnt(0)
	s_waitcnt_vscnt null, 0x0
	v_mul_f64 v[10:11], v[2:3], s[30:31]
	v_mul_f64 v[12:13], v[2:3], s[16:17]
	;; [unrolled: 1-line block ×12, first 2 shown]
	s_barrier
	v_mul_f64 v[176:177], v[108:109], s[28:29]
	v_mul_f64 v[142:143], v[108:109], s[30:31]
	buffer_gl0_inv
	v_add_nc_u32_e32 v204, 0x2000, v255
	v_mul_f64 v[154:155], v[112:113], s[34:35]
	v_mul_f64 v[134:135], v[112:113], s[10:11]
	v_add_nc_u32_e32 v203, 0x3000, v255
	v_add_nc_u32_e32 v205, 0x1000, v255
	;; [unrolled: 1-line block ×3, first 2 shown]
	v_fma_f64 v[24:25], v[22:23], s[24:25], v[10:11]
	v_fma_f64 v[10:11], v[22:23], s[24:25], -v[10:11]
	v_fma_f64 v[26:27], v[22:23], s[4:5], v[12:13]
	v_fma_f64 v[12:13], v[22:23], s[4:5], -v[12:13]
	;; [unrolled: 2-line block ×5, first 2 shown]
	v_mul_f64 v[22:23], v[8:9], s[30:31]
	v_mul_f64 v[8:9], v[8:9], s[20:21]
	v_fma_f64 v[46:47], v[40:41], s[4:5], v[34:35]
	v_fma_f64 v[34:35], v[40:41], s[4:5], -v[34:35]
	v_fma_f64 v[48:49], v[40:41], s[14:15], v[36:37]
	v_fma_f64 v[36:37], v[40:41], s[14:15], -v[36:37]
	v_fma_f64 v[50:51], v[40:41], s[6:7], v[38:39]
	v_fma_f64 v[38:39], v[40:41], s[6:7], -v[38:39]
	v_add_nc_u32_e32 v207, 0x400, v255
	v_add_nc_u32_e32 v208, 0x1c00, v255
	;; [unrolled: 1-line block ×3, first 2 shown]
	v_add_f64 v[72:73], v[72:73], v[114:115]
	v_add_f64 v[222:223], v[4:5], v[24:25]
	;; [unrolled: 1-line block ×11, first 2 shown]
	v_fma_f64 v[42:43], v[40:41], s[24:25], v[22:23]
	v_fma_f64 v[22:23], v[40:41], s[24:25], -v[22:23]
	v_fma_f64 v[54:55], v[40:41], s[12:13], v[8:9]
	v_fma_f64 v[8:9], v[40:41], s[12:13], -v[8:9]
	v_add_f64 v[2:3], v[214:215], -v[18:19]
	v_add_f64 v[235:236], v[6:7], v[46:47]
	v_add_f64 v[110:111], v[6:7], v[34:35]
	;; [unrolled: 1-line block ×12, first 2 shown]
	v_mul_f64 v[4:5], v[2:3], s[30:31]
	v_mul_f64 v[6:7], v[2:3], s[16:17]
	;; [unrolled: 1-line block ×5, first 2 shown]
	v_add_f64 v[72:73], v[72:73], v[140:141]
	v_fma_f64 v[18:19], v[16:17], s[24:25], v[4:5]
	v_fma_f64 v[4:5], v[16:17], s[24:25], -v[4:5]
	v_fma_f64 v[20:21], v[16:17], s[4:5], v[6:7]
	v_fma_f64 v[6:7], v[16:17], s[4:5], -v[6:7]
	;; [unrolled: 2-line block ×5, first 2 shown]
	v_add_f64 v[72:73], v[72:73], v[196:197]
	v_add_f64 v[74:75], v[0:1], v[18:19]
	;; [unrolled: 1-line block ×11, first 2 shown]
	v_fma_f64 v[0:1], v[96:97], s[6:7], v[102:103]
	v_fma_f64 v[2:3], v[96:97], s[12:13], v[116:117]
	v_fma_f64 v[4:5], v[98:99], s[12:13], v[78:79]
	v_add_f64 v[72:73], v[72:73], v[144:145]
	v_fma_f64 v[78:79], v[98:99], s[12:13], -v[78:79]
	v_add_f64 v[0:1], v[0:1], v[10:11]
	v_add_f64 v[2:3], v[2:3], v[12:13]
	;; [unrolled: 1-line block ×4, first 2 shown]
	v_fma_f64 v[4:5], v[98:99], s[4:5], v[87:88]
	v_add_f64 v[72:73], v[72:73], v[150:151]
	v_add_f64 v[2:3], v[4:5], v[2:3]
	v_fma_f64 v[4:5], v[136:137], s[14:15], v[176:177]
	v_add_f64 v[72:73], v[72:73], v[200:201]
	v_add_f64 v[0:1], v[4:5], v[0:1]
	;; [unrolled: 3-line block ×3, first 2 shown]
	v_fma_f64 v[4:5], v[132:133], s[24:25], v[154:155]
	v_add_f64 v[128:129], v[4:5], v[0:1]
	v_fma_f64 v[0:1], v[132:133], s[6:7], v[134:135]
	v_add_f64 v[138:139], v[0:1], v[2:3]
	ds_read_b64 v[104:105], v255 offset:14960
	ds_read2_b64 v[12:15], v255 offset1:55
	ds_read2_b64 v[8:11], v255 offset0:110 offset1:165
	ds_read2_b64 v[0:3], v202 offset0:74 offset1:129
	;; [unrolled: 1-line block ×16, first 2 shown]
	s_waitcnt lgkmcnt(0)
	s_barrier
	buffer_gl0_inv
	ds_write2_b64 v82, v[128:129], v[138:139] offset0:14 offset1:21
	v_mul_f64 v[128:129], v[100:101], s[28:29]
	v_fma_f64 v[138:139], v[96:97], s[14:15], v[128:129]
	v_add_f64 v[85:86], v[138:139], v[85:86]
	v_mul_f64 v[138:139], v[100:101], s[34:35]
	v_fma_f64 v[124:125], v[96:97], s[24:25], v[138:139]
	v_add_f64 v[90:91], v[124:125], v[90:91]
	;; [unrolled: 3-line block ×8, first 2 shown]
	ds_write2_b64 v82, v[85:86], v[90:91] offset0:28 offset1:35
	v_fma_f64 v[85:86], v[96:97], s[14:15], -v[128:129]
	v_fma_f64 v[90:91], v[98:99], s[24:25], -v[124:125]
	v_add_f64 v[76:77], v[85:86], v[76:77]
	v_fma_f64 v[85:86], v[96:97], s[24:25], -v[138:139]
	v_add_f64 v[76:77], v[90:91], v[76:77]
	v_add_f64 v[85:86], v[85:86], v[94:95]
	v_fma_f64 v[90:91], v[98:99], s[6:7], -v[126:127]
	v_add_f64 v[85:86], v[90:91], v[85:86]
	v_fma_f64 v[90:91], v[136:137], s[12:13], -v[120:121]
	;; [unrolled: 2-line block ×5, first 2 shown]
	v_add_f64 v[85:86], v[90:91], v[85:86]
	v_mul_f64 v[90:91], v[210:211], s[18:19]
	ds_write2_b64 v82, v[85:86], v[76:77] offset0:42 offset1:49
	v_mul_f64 v[76:77], v[100:101], s[16:17]
	v_fma_f64 v[94:95], v[98:99], s[14:15], v[90:91]
	v_fma_f64 v[85:86], v[96:97], s[4:5], v[76:77]
	v_add_f64 v[85:86], v[85:86], v[222:223]
	v_add_f64 v[85:86], v[94:95], v[85:86]
	v_mul_f64 v[94:95], v[108:109], s[10:11]
	v_fma_f64 v[100:101], v[136:137], s[6:7], v[94:95]
	v_add_f64 v[85:86], v[100:101], v[85:86]
	v_mul_f64 v[100:101], v[112:113], s[20:21]
	v_fma_f64 v[108:109], v[132:133], s[12:13], v[100:101]
	v_add_f64 v[85:86], v[108:109], v[85:86]
	ds_write2_b64 v82, v[72:73], v[85:86] offset1:7
	v_fma_f64 v[72:73], v[96:97], s[6:7], -v[102:103]
	v_fma_f64 v[85:86], v[96:97], s[12:13], -v[116:117]
	v_add_f64 v[72:73], v[72:73], v[249:250]
	v_add_f64 v[85:86], v[85:86], v[251:252]
	;; [unrolled: 1-line block ×3, first 2 shown]
	v_fma_f64 v[78:79], v[98:99], s[4:5], -v[87:88]
	v_add_f64 v[78:79], v[78:79], v[85:86]
	v_fma_f64 v[85:86], v[136:137], s[14:15], -v[176:177]
	v_add_f64 v[72:73], v[85:86], v[72:73]
	;; [unrolled: 2-line block ×5, first 2 shown]
	ds_write2_b64 v82, v[78:79], v[72:73] offset0:56 offset1:63
	v_fma_f64 v[72:73], v[96:97], s[4:5], -v[76:77]
	v_fma_f64 v[76:77], v[98:99], s[14:15], -v[90:91]
	;; [unrolled: 1-line block ×3, first 2 shown]
	v_add_f64 v[72:73], v[72:73], v[241:242]
	v_add_f64 v[72:73], v[76:77], v[72:73]
	v_fma_f64 v[76:77], v[132:133], s[12:13], -v[100:101]
	v_add_f64 v[72:73], v[78:79], v[72:73]
	v_add_f64 v[78:79], v[152:153], -v[188:189]
	v_add_f64 v[72:73], v[76:77], v[72:73]
	v_add_f64 v[76:77], v[184:185], -v[174:175]
	v_mul_f64 v[112:113], v[78:79], s[10:11]
	ds_write_b64 v82, v[72:73] offset:560
	s_clause 0x9
	buffer_load_dword v87, off, s[36:39], 0 offset:208
	buffer_load_dword v88, off, s[36:39], 0 offset:212
	buffer_load_dword v98, off, s[36:39], 0 offset:288
	buffer_load_dword v99, off, s[36:39], 0 offset:292
	buffer_load_dword v96, off, s[36:39], 0 offset:224
	buffer_load_dword v97, off, s[36:39], 0 offset:228
	buffer_load_dword v116, off, s[36:39], 0 offset:240
	buffer_load_dword v117, off, s[36:39], 0 offset:244
	buffer_load_dword v100, off, s[36:39], 0 offset:264
	buffer_load_dword v101, off, s[36:39], 0 offset:268
	v_add_f64 v[72:73], v[122:123], -v[194:195]
	v_mul_f64 v[124:125], v[76:77], s[22:23]
	v_mul_f64 v[138:139], v[76:77], s[30:31]
	;; [unrolled: 1-line block ×3, first 2 shown]
	s_waitcnt vmcnt(8)
	v_add_f64 v[85:86], v[231:232], v[87:88]
	v_add_f64 v[87:88], v[87:88], v[190:191]
	s_waitcnt vmcnt(6)
	v_add_f64 v[85:86], v[85:86], v[98:99]
	v_fma_f64 v[94:95], v[87:88], s[4:5], v[90:91]
	s_waitcnt vmcnt(0)
	v_add_f64 v[98:99], v[98:99], v[100:101]
	v_add_f64 v[85:86], v[85:86], v[96:97]
	;; [unrolled: 1-line block ×4, first 2 shown]
	v_fma_f64 v[126:127], v[98:99], s[12:13], v[124:125]
	v_fma_f64 v[140:141], v[98:99], s[24:25], v[138:139]
	v_add_f64 v[85:86], v[85:86], v[180:181]
	v_fma_f64 v[114:115], v[96:97], s[6:7], v[112:113]
	v_add_f64 v[85:86], v[85:86], v[116:117]
	v_add_f64 v[85:86], v[85:86], v[186:187]
	;; [unrolled: 1-line block ×3, first 2 shown]
	v_mul_f64 v[100:101], v[76:77], s[18:19]
	v_add_f64 v[85:86], v[85:86], v[190:191]
	v_fma_f64 v[108:109], v[98:99], s[14:15], v[100:101]
	v_add_f64 v[85:86], v[85:86], v[172:173]
	v_add_f64 v[94:95], v[108:109], v[94:95]
	v_add_f64 v[108:109], v[182:183], -v[170:171]
	v_add_f64 v[94:95], v[114:115], v[94:95]
	v_add_f64 v[114:115], v[180:181], v[116:117]
	v_mul_f64 v[116:117], v[108:109], s[20:21]
	v_fma_f64 v[118:119], v[114:115], s[12:13], v[116:117]
	v_add_f64 v[94:95], v[118:119], v[94:95]
	v_mul_f64 v[118:119], v[72:73], s[22:23]
	ds_write2_b64 v83, v[85:86], v[94:95] offset1:7
	v_mul_f64 v[85:86], v[72:73], s[10:11]
	v_fma_f64 v[120:121], v[87:88], s[12:13], v[118:119]
	v_fma_f64 v[94:95], v[87:88], s[6:7], v[85:86]
	v_add_f64 v[120:121], v[120:121], v[233:234]
	v_add_f64 v[94:95], v[94:95], v[235:236]
	v_add_f64 v[94:95], v[126:127], v[94:95]
	v_mul_f64 v[126:127], v[76:77], s[26:27]
	v_mul_f64 v[76:77], v[76:77], s[10:11]
	v_fma_f64 v[128:129], v[98:99], s[4:5], v[126:127]
	v_add_f64 v[120:121], v[128:129], v[120:121]
	v_mul_f64 v[128:129], v[78:79], s[28:29]
	v_fma_f64 v[130:131], v[96:97], s[14:15], v[128:129]
	v_add_f64 v[94:95], v[130:131], v[94:95]
	;; [unrolled: 3-line block ×5, first 2 shown]
	ds_write2_b64 v83, v[94:95], v[120:121] offset0:14 offset1:21
	v_mul_f64 v[94:95], v[72:73], s[28:29]
	v_mul_f64 v[72:73], v[72:73], s[34:35]
	v_fma_f64 v[120:121], v[87:88], s[14:15], v[94:95]
	v_fma_f64 v[136:137], v[87:88], s[24:25], v[72:73]
	v_fma_f64 v[94:95], v[87:88], s[14:15], -v[94:95]
	v_fma_f64 v[72:73], v[87:88], s[24:25], -v[72:73]
	v_add_f64 v[120:121], v[120:121], v[227:228]
	v_add_f64 v[136:137], v[136:137], v[225:226]
	;; [unrolled: 1-line block ×5, first 2 shown]
	v_fma_f64 v[140:141], v[98:99], s[6:7], v[76:77]
	v_fma_f64 v[76:77], v[98:99], s[6:7], -v[76:77]
	v_add_f64 v[136:137], v[140:141], v[136:137]
	v_mul_f64 v[140:141], v[78:79], s[20:21]
	v_mul_f64 v[78:79], v[78:79], s[26:27]
	v_add_f64 v[72:73], v[76:77], v[72:73]
	v_fma_f64 v[142:143], v[96:97], s[12:13], v[140:141]
	v_fma_f64 v[76:77], v[96:97], s[12:13], -v[140:141]
	v_add_f64 v[120:121], v[142:143], v[120:121]
	v_fma_f64 v[142:143], v[96:97], s[4:5], v[78:79]
	v_fma_f64 v[78:79], v[96:97], s[4:5], -v[78:79]
	v_add_f64 v[136:137], v[142:143], v[136:137]
	v_mul_f64 v[142:143], v[108:109], s[26:27]
	v_mul_f64 v[108:109], v[108:109], s[18:19]
	v_add_f64 v[72:73], v[78:79], v[72:73]
	v_fma_f64 v[144:145], v[114:115], s[4:5], v[142:143]
	v_fma_f64 v[78:79], v[114:115], s[4:5], -v[142:143]
	v_add_f64 v[120:121], v[144:145], v[120:121]
	v_fma_f64 v[144:145], v[114:115], s[14:15], v[108:109]
	v_add_f64 v[136:137], v[144:145], v[136:137]
	ds_write2_b64 v83, v[120:121], v[136:137] offset0:28 offset1:35
	v_fma_f64 v[120:121], v[98:99], s[24:25], -v[138:139]
	v_add_f64 v[94:95], v[120:121], v[94:95]
	v_add_f64 v[76:77], v[76:77], v[94:95]
	;; [unrolled: 1-line block ×3, first 2 shown]
	v_fma_f64 v[78:79], v[114:115], s[14:15], -v[108:109]
	v_add_f64 v[72:73], v[78:79], v[72:73]
	v_fma_f64 v[78:79], v[98:99], s[12:13], -v[124:125]
	ds_write2_b64 v83, v[72:73], v[76:77] offset0:42 offset1:49
	v_fma_f64 v[72:73], v[87:88], s[6:7], -v[85:86]
	v_fma_f64 v[76:77], v[87:88], s[12:13], -v[118:119]
	v_add_f64 v[72:73], v[72:73], v[110:111]
	v_add_f64 v[76:77], v[76:77], v[216:217]
	;; [unrolled: 1-line block ×3, first 2 shown]
	v_fma_f64 v[78:79], v[98:99], s[4:5], -v[126:127]
	v_add_f64 v[76:77], v[78:79], v[76:77]
	v_fma_f64 v[78:79], v[96:97], s[14:15], -v[128:129]
	v_add_f64 v[72:73], v[78:79], v[72:73]
	;; [unrolled: 2-line block ×5, first 2 shown]
	v_add_f64 v[78:79], v[160:161], -v[162:163]
	ds_write2_b64 v83, v[76:77], v[72:73] offset0:56 offset1:63
	v_fma_f64 v[72:73], v[87:88], s[4:5], -v[90:91]
	v_fma_f64 v[76:77], v[98:99], s[14:15], -v[100:101]
	v_add_f64 v[72:73], v[72:73], v[106:107]
	v_add_f64 v[72:73], v[76:77], v[72:73]
	v_fma_f64 v[76:77], v[96:97], s[6:7], -v[112:113]
	v_add_f64 v[72:73], v[76:77], v[72:73]
	v_fma_f64 v[76:77], v[114:115], s[12:13], -v[116:117]
	v_add_f64 v[72:73], v[76:77], v[72:73]
	v_add_f64 v[76:77], v[146:147], -v[158:159]
	ds_write_b64 v83, v[72:73] offset:560
	s_clause 0x5
	buffer_load_dword v122, off, s[36:39], 0 offset:176
	buffer_load_dword v123, off, s[36:39], 0 offset:180
	;; [unrolled: 1-line block ×6, first 2 shown]
	v_add_f64 v[72:73], v[156:157], -v[166:167]
	s_clause 0x5
	buffer_load_dword v162, off, s[36:39], 0 offset:216
	buffer_load_dword v163, off, s[36:39], 0 offset:220
	;; [unrolled: 1-line block ×6, first 2 shown]
	v_mul_f64 v[87:88], v[72:73], s[16:17]
	s_waitcnt vmcnt(10)
	v_add_f64 v[82:83], v[253:254], v[122:123]
	s_waitcnt vmcnt(8)
	v_add_f64 v[85:86], v[122:123], v[106:107]
	v_mul_f64 v[122:123], v[76:77], s[30:31]
	s_waitcnt vmcnt(6)
	v_add_f64 v[82:83], v[82:83], v[160:161]
	v_fma_f64 v[90:91], v[85:86], s[4:5], v[87:88]
	s_waitcnt vmcnt(4)
	v_add_f64 v[82:83], v[82:83], v[162:163]
	v_add_f64 v[74:75], v[90:91], v[74:75]
	s_clause 0x3
	buffer_load_dword v90, off, s[36:39], 0 offset:192
	buffer_load_dword v91, off, s[36:39], 0 offset:196
	buffer_load_dword v96, off, s[36:39], 0 offset:200
	buffer_load_dword v97, off, s[36:39], 0 offset:204
	s_waitcnt vmcnt(6)
	v_add_f64 v[82:83], v[82:83], v[166:167]
	s_waitcnt vmcnt(4)
	v_add_f64 v[82:83], v[82:83], v[152:153]
	;; [unrolled: 2-line block ×4, first 2 shown]
	v_add_f64 v[90:91], v[162:163], v[90:91]
	v_add_f64 v[82:83], v[82:83], v[96:97]
	s_clause 0x3
	buffer_load_dword v96, off, s[36:39], 0 offset:272
	buffer_load_dword v97, off, s[36:39], 0 offset:276
	;; [unrolled: 1-line block ×4, first 2 shown]
	v_fma_f64 v[124:125], v[94:95], s[24:25], v[122:123]
	v_add_f64 v[82:83], v[82:83], v[106:107]
	v_mul_f64 v[106:107], v[78:79], s[10:11]
	v_add_f64 v[82:83], v[82:83], v[148:149]
	v_fma_f64 v[108:109], v[90:91], s[6:7], v[106:107]
	s_waitcnt vmcnt(0)
	v_add_f64 v[96:97], v[96:97], -v[98:99]
	v_mul_f64 v[98:99], v[76:77], s[18:19]
	v_mul_f64 v[102:103], v[96:97], s[20:21]
	v_fma_f64 v[100:101], v[94:95], s[14:15], v[98:99]
	v_add_f64 v[74:75], v[100:101], v[74:75]
	v_add_f64 v[100:101], v[166:167], v[152:153]
	;; [unrolled: 1-line block ×3, first 2 shown]
	v_fma_f64 v[108:109], v[100:101], s[12:13], v[102:103]
	v_add_f64 v[74:75], v[108:109], v[74:75]
	ds_write2_b64 v84, v[82:83], v[74:75] offset1:7
	v_mul_f64 v[74:75], v[72:73], s[10:11]
	v_fma_f64 v[82:83], v[85:86], s[6:7], v[74:75]
	v_add_f64 v[70:71], v[82:83], v[70:71]
	v_mul_f64 v[82:83], v[72:73], s[22:23]
	v_fma_f64 v[108:109], v[85:86], s[12:13], v[82:83]
	v_add_f64 v[68:69], v[108:109], v[68:69]
	;; [unrolled: 3-line block ×3, first 2 shown]
	v_mul_f64 v[110:111], v[76:77], s[26:27]
	v_mul_f64 v[76:77], v[76:77], s[10:11]
	v_fma_f64 v[112:113], v[94:95], s[4:5], v[110:111]
	v_add_f64 v[68:69], v[112:113], v[68:69]
	v_mul_f64 v[112:113], v[78:79], s[28:29]
	v_fma_f64 v[114:115], v[90:91], s[14:15], v[112:113]
	v_add_f64 v[70:71], v[114:115], v[70:71]
	;; [unrolled: 3-line block ×5, first 2 shown]
	ds_write2_b64 v84, v[70:71], v[68:69] offset0:14 offset1:21
	v_mul_f64 v[68:69], v[72:73], s[28:29]
	v_mul_f64 v[72:73], v[72:73], s[34:35]
	v_fma_f64 v[70:71], v[85:86], s[14:15], v[68:69]
	v_fma_f64 v[120:121], v[85:86], s[24:25], v[72:73]
	v_fma_f64 v[68:69], v[85:86], s[14:15], -v[68:69]
	v_add_f64 v[70:71], v[70:71], v[247:248]
	v_add_f64 v[120:121], v[120:121], v[245:246]
	;; [unrolled: 1-line block ×4, first 2 shown]
	v_fma_f64 v[124:125], v[94:95], s[6:7], v[76:77]
	v_add_f64 v[120:121], v[124:125], v[120:121]
	v_mul_f64 v[124:125], v[78:79], s[20:21]
	v_mul_f64 v[78:79], v[78:79], s[26:27]
	v_fma_f64 v[126:127], v[90:91], s[12:13], v[124:125]
	v_add_f64 v[70:71], v[126:127], v[70:71]
	v_fma_f64 v[126:127], v[90:91], s[4:5], v[78:79]
	v_add_f64 v[120:121], v[126:127], v[120:121]
	v_mul_f64 v[126:127], v[96:97], s[26:27]
	v_mul_f64 v[96:97], v[96:97], s[18:19]
	v_fma_f64 v[128:129], v[100:101], s[4:5], v[126:127]
	v_add_f64 v[70:71], v[128:129], v[70:71]
	v_fma_f64 v[128:129], v[100:101], s[14:15], v[96:97]
	v_add_f64 v[120:121], v[128:129], v[120:121]
	ds_write2_b64 v84, v[70:71], v[120:121] offset0:28 offset1:35
	v_fma_f64 v[70:71], v[85:86], s[24:25], -v[72:73]
	v_fma_f64 v[72:73], v[94:95], s[24:25], -v[122:123]
	v_add_f64 v[70:71], v[70:71], v[239:240]
	v_add_f64 v[68:69], v[72:73], v[68:69]
	v_fma_f64 v[72:73], v[94:95], s[6:7], -v[76:77]
	v_add_f64 v[70:71], v[72:73], v[70:71]
	v_fma_f64 v[72:73], v[90:91], s[12:13], -v[124:125]
	;; [unrolled: 2-line block ×6, first 2 shown]
	ds_write2_b64 v84, v[70:71], v[68:69] offset0:42 offset1:49
	v_fma_f64 v[68:69], v[85:86], s[6:7], -v[74:75]
	v_fma_f64 v[70:71], v[85:86], s[12:13], -v[82:83]
	v_add_f64 v[68:69], v[68:69], v[214:215]
	v_add_f64 v[70:71], v[70:71], v[229:230]
	;; [unrolled: 1-line block ×3, first 2 shown]
	v_fma_f64 v[72:73], v[94:95], s[4:5], -v[110:111]
	v_add_f64 v[70:71], v[72:73], v[70:71]
	v_fma_f64 v[72:73], v[90:91], s[14:15], -v[112:113]
	v_add_f64 v[68:69], v[72:73], v[68:69]
	;; [unrolled: 2-line block ×5, first 2 shown]
	ds_write2_b64 v84, v[70:71], v[68:69] offset0:56 offset1:63
	v_fma_f64 v[68:69], v[85:86], s[4:5], -v[87:88]
	v_fma_f64 v[70:71], v[94:95], s[14:15], -v[98:99]
	v_add_f64 v[68:69], v[68:69], v[212:213]
	v_add_f64 v[68:69], v[70:71], v[68:69]
	v_fma_f64 v[70:71], v[90:91], s[6:7], -v[106:107]
	v_add_f64 v[68:69], v[70:71], v[68:69]
	v_fma_f64 v[70:71], v[100:101], s[12:13], -v[102:103]
	v_add_f64 v[68:69], v[70:71], v[68:69]
	ds_write_b64 v84, v[68:69] offset:560
	s_and_saveexec_b32 s26, s0
	s_cbranch_execz .LBB0_19
; %bb.18:
	s_clause 0x9
	buffer_load_dword v70, off, s[36:39], 0 offset:160
	buffer_load_dword v71, off, s[36:39], 0 offset:164
	;; [unrolled: 1-line block ×10, first 2 shown]
	s_mov_b32 s16, 0xf8bb580b
	s_mov_b32 s17, 0xbfe14ced
	s_mov_b32 s11, 0xbfed1bb4
	s_mov_b32 s10, 0x8eee2c13
	s_mov_b32 s20, 0xbb3a28a1
	s_mov_b32 s22, 0xfd768dbf
	s_mov_b32 s21, 0xbfe82f19
	s_mov_b32 s23, 0xbfd207e7
	s_mov_b32 s0, 0x8764f0ba
	s_mov_b32 s6, 0x640f44db
	s_mov_b32 s1, 0x3feaeb8c
	s_mov_b32 s7, 0xbfc2375f
	s_mov_b32 s12, 0x7f775887
	s_mov_b32 s14, 0x9bcd5057
	s_mov_b32 s25, 0x3fd207e7
	s_mov_b32 s31, 0x3fe14ced
	s_mov_b32 s24, s22
	s_mov_b32 s28, s18
	s_mov_b32 s30, s16
	s_mov_b32 s13, 0xbfe4f49e
	s_mov_b32 s15, 0xbfeeb42a
	v_mov_b32_e32 v88, 0x268
	v_mul_u32_u24_sdwa v88, v89, v88 dst_sel:DWORD dst_unused:UNUSED_PAD src0_sel:WORD_0 src1_sel:DWORD
	s_waitcnt vmcnt(8)
	v_add_f64 v[68:69], v[92:93], v[70:71]
	s_waitcnt vmcnt(6)
	v_add_f64 v[70:71], v[70:71], v[162:163]
	s_waitcnt vmcnt(2)
	v_add_f64 v[72:73], v[72:73], -v[74:75]
	s_clause 0x5
	buffer_load_dword v74, off, s[36:39], 0 offset:128
	buffer_load_dword v75, off, s[36:39], 0 offset:132
	;; [unrolled: 1-line block ×6, first 2 shown]
	s_waitcnt vmcnt(6)
	v_add_f64 v[68:69], v[68:69], v[76:77]
	v_mul_f64 v[98:99], v[72:73], s[10:11]
	v_mul_f64 v[100:101], v[72:73], s[18:19]
	;; [unrolled: 1-line block ×3, first 2 shown]
	v_fma_f64 v[140:141], v[70:71], s[4:5], v[98:99]
	v_fma_f64 v[98:99], v[70:71], s[4:5], -v[98:99]
	v_fma_f64 v[142:143], v[70:71], s[6:7], v[100:101]
	v_fma_f64 v[144:145], v[70:71], s[12:13], v[102:103]
	v_fma_f64 v[102:103], v[70:71], s[12:13], -v[102:103]
	v_fma_f64 v[100:101], v[70:71], s[6:7], -v[100:101]
	v_add_f64 v[98:99], v[92:93], v[98:99]
	v_add_f64 v[102:103], v[92:93], v[102:103]
	;; [unrolled: 1-line block ×3, first 2 shown]
	s_waitcnt vmcnt(2)
	v_add_f64 v[74:75], v[74:75], -v[78:79]
	s_clause 0x3
	buffer_load_dword v78, off, s[36:39], 0 offset:112
	buffer_load_dword v79, off, s[36:39], 0 offset:116
	;; [unrolled: 1-line block ×4, first 2 shown]
	s_waitcnt vmcnt(4)
	v_add_f64 v[76:77], v[76:77], v[164:165]
	v_mul_f64 v[106:107], v[74:75], s[10:11]
	v_mul_f64 v[108:109], v[74:75], s[20:21]
	;; [unrolled: 1-line block ×5, first 2 shown]
	s_mov_b32 s11, 0x3fed1bb4
	v_fma_f64 v[150:151], v[76:77], s[14:15], v[110:111]
	v_fma_f64 v[110:111], v[76:77], s[14:15], -v[110:111]
	v_fma_f64 v[152:153], v[76:77], s[6:7], v[112:113]
	v_fma_f64 v[112:113], v[76:77], s[6:7], -v[112:113]
	;; [unrolled: 2-line block ×3, first 2 shown]
	v_add_f64 v[102:103], v[112:113], v[102:103]
	s_waitcnt vmcnt(0)
	v_add_f64 v[78:79], v[78:79], -v[82:83]
	s_clause 0x13
	buffer_load_dword v82, off, s[36:39], 0 offset:104
	buffer_load_dword v83, off, s[36:39], 0 offset:108
	;; [unrolled: 1-line block ×20, first 2 shown]
	v_mul_f64 v[114:115], v[78:79], s[18:19]
	v_mul_f64 v[118:119], v[78:79], s[16:17]
	;; [unrolled: 1-line block ×3, first 2 shown]
	s_waitcnt vmcnt(18)
	v_add_f64 v[68:69], v[68:69], v[82:83]
	s_waitcnt vmcnt(16)
	v_add_f64 v[82:83], v[82:83], v[166:167]
	;; [unrolled: 2-line block ×3, first 2 shown]
	s_waitcnt vmcnt(8)
	v_add_f64 v[86:87], v[86:87], -v[90:91]
	s_waitcnt vmcnt(4)
	v_add_f64 v[90:91], v[148:149], v[156:157]
	s_waitcnt vmcnt(0)
	v_add_f64 v[94:95], v[94:95], -v[96:97]
	v_mul_f64 v[96:97], v[72:73], s[16:17]
	v_mul_f64 v[72:73], v[72:73], s[22:23]
	v_add_f64 v[68:69], v[68:69], v[116:117]
	v_mul_f64 v[116:117], v[78:79], s[24:25]
	v_mul_f64 v[78:79], v[78:79], s[10:11]
	;; [unrolled: 1-line block ×5, first 2 shown]
	v_fma_f64 v[138:139], v[70:71], s[0:1], v[96:97]
	v_fma_f64 v[146:147], v[70:71], s[14:15], v[72:73]
	v_fma_f64 v[72:73], v[70:71], s[14:15], -v[72:73]
	v_fma_f64 v[70:71], v[70:71], s[0:1], -v[96:97]
	v_fma_f64 v[96:97], v[76:77], s[4:5], v[106:107]
	v_fma_f64 v[106:107], v[76:77], s[4:5], -v[106:107]
	v_fma_f64 v[158:159], v[82:83], s[12:13], v[120:121]
	v_fma_f64 v[120:121], v[82:83], s[12:13], -v[120:121]
	v_mul_f64 v[128:129], v[86:87], s[22:23]
	v_mul_f64 v[86:87], v[86:87], s[10:11]
	v_mul_f64 v[130:131], v[94:95], s[22:23]
	v_mul_f64 v[132:133], v[94:95], s[30:31]
	v_mul_f64 v[134:135], v[94:95], s[20:21]
	v_mul_f64 v[136:137], v[94:95], s[18:19]
	v_mul_f64 v[94:95], v[94:95], s[10:11]
	v_add_f64 v[68:69], v[68:69], v[148:149]
	v_fma_f64 v[148:149], v[76:77], s[12:13], v[108:109]
	v_fma_f64 v[108:109], v[76:77], s[12:13], -v[108:109]
	v_fma_f64 v[160:161], v[82:83], s[4:5], v[78:79]
	v_fma_f64 v[78:79], v[82:83], s[4:5], -v[78:79]
	v_add_f64 v[76:77], v[92:93], v[138:139]
	v_add_f64 v[138:139], v[92:93], v[140:141]
	;; [unrolled: 1-line block ×7, first 2 shown]
	v_fma_f64 v[92:93], v[82:83], s[6:7], v[114:115]
	v_fma_f64 v[114:115], v[82:83], s[6:7], -v[114:115]
	v_fma_f64 v[146:147], v[82:83], s[14:15], v[116:117]
	v_fma_f64 v[116:117], v[82:83], s[14:15], -v[116:117]
	v_add_f64 v[68:69], v[68:69], v[156:157]
	v_fma_f64 v[156:157], v[82:83], s[0:1], v[118:119]
	v_fma_f64 v[118:119], v[82:83], s[0:1], -v[118:119]
	v_add_f64 v[76:77], v[96:97], v[76:77]
	v_add_f64 v[82:83], v[148:149], v[138:139]
	;; [unrolled: 1-line block ×9, first 2 shown]
	v_fma_f64 v[100:101], v[84:85], s[12:13], v[122:123]
	v_fma_f64 v[106:107], v[84:85], s[12:13], -v[122:123]
	v_fma_f64 v[110:111], v[84:85], s[6:7], v[124:125]
	v_fma_f64 v[122:123], v[84:85], s[6:7], -v[124:125]
	;; [unrolled: 2-line block ×3, first 2 shown]
	v_fma_f64 v[138:139], v[84:85], s[14:15], v[128:129]
	v_add_f64 v[68:69], v[68:69], v[168:169]
	v_fma_f64 v[128:129], v[84:85], s[14:15], -v[128:129]
	v_fma_f64 v[140:141], v[84:85], s[4:5], v[86:87]
	v_fma_f64 v[84:85], v[84:85], s[4:5], -v[86:87]
	v_add_f64 v[76:77], v[92:93], v[76:77]
	v_add_f64 v[82:83], v[146:147], v[82:83]
	;; [unrolled: 1-line block ×10, first 2 shown]
	v_fma_f64 v[78:79], v[90:91], s[14:15], v[130:131]
	v_fma_f64 v[112:113], v[90:91], s[0:1], v[132:133]
	;; [unrolled: 1-line block ×3, first 2 shown]
	v_fma_f64 v[108:109], v[90:91], s[14:15], -v[130:131]
	v_fma_f64 v[114:115], v[90:91], s[0:1], -v[132:133]
	;; [unrolled: 1-line block ×3, first 2 shown]
	v_add_f64 v[68:69], v[68:69], v[166:167]
	v_fma_f64 v[120:121], v[90:91], s[6:7], v[136:137]
	v_fma_f64 v[130:131], v[90:91], s[6:7], -v[136:137]
	v_fma_f64 v[132:133], v[90:91], s[4:5], v[94:95]
	v_fma_f64 v[90:91], v[90:91], s[4:5], -v[94:95]
	v_add_f64 v[76:77], v[100:101], v[76:77]
	v_add_f64 v[82:83], v[110:111], v[82:83]
	;; [unrolled: 1-line block ×21, first 2 shown]
	v_mov_b32_e32 v94, 3
	v_lshlrev_b32_sdwa v80, v94, v80 dst_sel:DWORD dst_unused:UNUSED_PAD src0_sel:DWORD src1_sel:BYTE_0
	v_add_f64 v[68:69], v[68:69], v[162:163]
	v_add3_u32 v80, 0, v88, v80
	ds_write2_b64 v80, v[78:79], v[84:85] offset0:14 offset1:21
	ds_write2_b64 v80, v[86:87], v[92:93] offset0:28 offset1:35
	;; [unrolled: 1-line block ×4, first 2 shown]
	ds_write2_b64 v80, v[68:69], v[76:77] offset1:7
	ds_write_b64 v80, v[70:71] offset:560
.LBB0_19:
	s_or_b32 exec_lo, exec_lo, s26
	buffer_load_dword v68, off, s[36:39], 0 offset:8 ; 4-byte Folded Reload
	v_subrev_nc_u32_e32 v69, 22, v224
	v_cmp_gt_u32_e64 s0, 22, v224
	v_add_nc_u32_e32 v201, 55, v224
	v_lshlrev_b32_e32 v123, 2, v224
	v_mov_b32_e32 v124, 0
	v_add_nc_u32_e32 v249, 0x6e, v224
	v_mov_b32_e32 v88, 6
	v_cndmask_b32_e64 v80, v69, v201, s0
	s_waitcnt vmcnt(0) lgkmcnt(0)
	v_lshlrev_b64 v[76:77], 4, v[123:124]
	s_barrier
	buffer_gl0_inv
	v_lshlrev_b32_e32 v123, 2, v80
	v_add_nc_u32_e32 v250, 0xa5, v224
	v_add_nc_u32_e32 v129, 0xdc, v224
	;; [unrolled: 1-line block ×3, first 2 shown]
	s_mov_b32 s6, 0x134454ff
	s_mov_b32 s7, 0x3fee6f0e
	;; [unrolled: 1-line block ×10, first 2 shown]
	v_mul_lo_u16 v68, 0xd5, v68
	v_lshrrev_b16 v79, 14, v68
	v_mul_lo_u16 v68, 0x4d, v79
	v_sub_nc_u16 v82, v249, v68
	v_lshlrev_b64 v[68:69], 4, v[123:124]
	v_lshlrev_b32_sdwa v78, v88, v82 dst_sel:DWORD dst_unused:UNUSED_PAD src0_sel:DWORD src1_sel:BYTE_0
	v_add_co_u32 v84, s0, s8, v68
	v_add_co_ci_u32_e64 v85, s0, s9, v69, s0
	v_add_co_u32 v125, s0, s8, v76
	s_clause 0x1
	global_load_dwordx4 v[68:71], v78, s[8:9] offset:1120
	global_load_dwordx4 v[72:75], v[84:85], off offset:1120
	buffer_load_dword v76, off, s[36:39], 0 offset:12 ; 4-byte Folded Reload
	v_add_co_ci_u32_e64 v126, s0, s9, v77, s0
	s_clause 0x9
	global_load_dwordx4 v[90:93], v[125:126], off offset:1136
	global_load_dwordx4 v[94:97], v[84:85], off offset:1136
	;; [unrolled: 1-line block ×3, first 2 shown]
	global_load_dwordx4 v[135:138], v78, s[8:9] offset:1168
	global_load_dwordx4 v[114:117], v[84:85], off offset:1168
	global_load_dwordx4 v[163:166], v[125:126], off offset:1152
	global_load_dwordx4 v[98:101], v78, s[8:9] offset:1152
	global_load_dwordx4 v[118:121], v78, s[8:9] offset:1136
	global_load_dwordx4 v[110:113], v[125:126], off offset:1168
	global_load_dwordx4 v[159:162], v[125:126], off offset:1120
	v_cmp_lt_u32_e64 s0, 21, v224
	s_waitcnt vmcnt(10)
	v_mul_lo_u16 v76, 0xd5, v76
	v_lshrrev_b16 v76, 14, v76
	v_mul_lo_u16 v76, 0x4d, v76
	v_sub_nc_u16 v76, v250, v76
	v_and_b32_e32 v83, 0xff, v76
	v_mov_b32_e32 v76, 0x1a99
	v_lshlrev_b32_e32 v77, 6, v83
	v_mul_u32_u24_sdwa v84, v129, v76 dst_sel:DWORD dst_unused:UNUSED_PAD src0_sel:WORD_0 src1_sel:DWORD
	s_clause 0x1
	global_load_dwordx4 v[131:134], v77, s[8:9] offset:1136
	global_load_dwordx4 v[143:146], v77, s[8:9] offset:1120
	v_lshrrev_b32_e32 v84, 19, v84
	s_clause 0x1
	global_load_dwordx4 v[139:142], v77, s[8:9] offset:1168
	global_load_dwordx4 v[151:154], v77, s[8:9] offset:1152
	v_mul_lo_u16 v78, 0x4d, v84
	v_sub_nc_u16 v85, v129, v78
	v_add_nc_u32_e32 v78, 0x113, v224
	v_lshlrev_b32_sdwa v89, v88, v85 dst_sel:DWORD dst_unused:UNUSED_PAD src0_sel:DWORD src1_sel:WORD_0
	v_mul_u32_u24_sdwa v86, v78, v76 dst_sel:DWORD dst_unused:UNUSED_PAD src0_sel:WORD_0 src1_sel:DWORD
	v_mul_u32_u24_sdwa v76, v130, v76 dst_sel:DWORD dst_unused:UNUSED_PAD src0_sel:WORD_0 src1_sel:DWORD
	global_load_dwordx4 v[147:150], v89, s[8:9] offset:1120
	v_lshrrev_b32_e32 v86, 19, v86
	v_lshrrev_b32_e32 v76, 19, v76
	s_clause 0x2
	global_load_dwordx4 v[155:158], v89, s[8:9] offset:1152
	global_load_dwordx4 v[167:170], v89, s[8:9] offset:1136
	;; [unrolled: 1-line block ×3, first 2 shown]
	v_mul_lo_u16 v77, 0x4d, v86
	v_mul_lo_u16 v76, 0x4d, v76
	v_sub_nc_u16 v87, v78, v77
	v_sub_nc_u16 v76, v130, v76
	v_lshlrev_b32_sdwa v77, v88, v87 dst_sel:DWORD dst_unused:UNUSED_PAD src0_sel:DWORD src1_sel:WORD_0
	global_load_dwordx4 v[175:178], v77, s[8:9] offset:1120
	v_and_b32_e32 v89, 0xffff, v76
	s_clause 0x1
	global_load_dwordx4 v[179:182], v77, s[8:9] offset:1136
	global_load_dwordx4 v[183:186], v77, s[8:9] offset:1152
	v_lshlrev_b32_e32 v76, 6, v89
	s_clause 0x4
	global_load_dwordx4 v[187:190], v77, s[8:9] offset:1168
	global_load_dwordx4 v[191:194], v76, s[8:9] offset:1120
	;; [unrolled: 1-line block ×5, first 2 shown]
	ds_read2_b64 v[218:221], v202 offset0:184 offset1:239
	ds_read2_b64 v[225:228], v81 offset0:2 offset1:57
	;; [unrolled: 1-line block ×5, first 2 shown]
	s_waitcnt lgkmcnt(4)
	v_mul_f64 v[76:77], v[220:221], v[70:71]
	v_mul_f64 v[70:71], v[66:67], v[70:71]
	;; [unrolled: 1-line block ×3, first 2 shown]
	s_waitcnt vmcnt(25) lgkmcnt(3)
	v_mul_f64 v[122:123], v[225:226], v[92:93]
	v_mul_f64 v[74:75], v[64:65], v[74:75]
	s_waitcnt vmcnt(24)
	v_mul_f64 v[127:128], v[227:228], v[96:97]
	v_mul_f64 v[96:97], v[62:63], v[96:97]
	;; [unrolled: 1-line block ×3, first 2 shown]
	s_waitcnt vmcnt(19) lgkmcnt(2)
	v_mul_f64 v[199:200], v[231:232], v[100:101]
	s_waitcnt vmcnt(18) lgkmcnt(1)
	v_mul_f64 v[243:244], v[237:238], v[120:121]
	v_mul_f64 v[120:121], v[48:49], v[120:121]
	v_fma_f64 v[222:223], v[66:67], v[68:69], -v[76:77]
	v_fma_f64 v[220:221], v[220:221], v[68:69], v[70:71]
	v_mul_f64 v[66:67], v[58:59], v[100:101]
	v_mul_f64 v[68:69], v[229:230], v[108:109]
	v_fma_f64 v[241:242], v[64:65], v[72:73], -v[102:103]
	v_mul_f64 v[64:65], v[56:57], v[108:109]
	v_fma_f64 v[122:123], v[60:61], v[90:91], -v[122:123]
	v_mul_f64 v[60:61], v[54:55], v[116:117]
	v_fma_f64 v[218:219], v[218:219], v[72:73], v[74:75]
	ds_read2_b64 v[100:103], v203 offset0:114 offset1:169
	s_waitcnt vmcnt(17) lgkmcnt(1)
	v_mul_f64 v[70:71], v[233:234], v[112:113]
	v_mul_f64 v[72:73], v[52:53], v[112:113]
	;; [unrolled: 1-line block ×3, first 2 shown]
	v_fma_f64 v[127:128], v[62:63], v[94:95], -v[127:128]
	v_fma_f64 v[227:228], v[227:228], v[94:95], v[96:97]
	ds_read2_b64 v[94:97], v205 offset0:38 offset1:93
	v_fma_f64 v[199:200], v[58:59], v[98:99], -v[199:200]
	v_fma_f64 v[225:226], v[225:226], v[90:91], v[92:93]
	ds_read2_b64 v[90:93], v255 offset1:55
	v_fma_f64 v[231:232], v[231:232], v[98:99], v[66:67]
	v_fma_f64 v[247:248], v[56:57], v[106:107], -v[68:69]
	ds_read2_b64 v[56:59], v202 offset0:74 offset1:129
	v_fma_f64 v[229:230], v[229:230], v[106:107], v[64:65]
	v_mul_f64 v[64:65], v[44:45], v[137:138]
	s_waitcnt lgkmcnt(3)
	v_mul_f64 v[68:69], v[100:101], v[137:138]
	v_fma_f64 v[62:63], v[235:236], v[114:115], v[60:61]
	v_fma_f64 v[235:236], v[237:238], v[118:119], v[120:121]
	ds_read2_b64 v[106:109], v206 offset0:40 offset1:95
	v_fma_f64 v[76:77], v[52:53], v[110:111], -v[70:71]
	v_fma_f64 v[74:75], v[233:234], v[110:111], v[72:73]
	v_fma_f64 v[66:67], v[54:55], v[114:115], -v[112:113]
	ds_read2_b64 v[110:113], v204 offset0:76 offset1:131
	v_fma_f64 v[233:234], v[48:49], v[118:119], -v[243:244]
	ds_read2_b64 v[114:117], v255 offset0:110 offset1:165
	ds_read2_b64 v[52:55], v207 offset0:92 offset1:147
	;; [unrolled: 1-line block ×3, first 2 shown]
	v_fma_f64 v[70:71], v[100:101], v[135:136], v[64:65]
	v_fma_f64 v[72:73], v[44:45], v[135:136], -v[68:69]
	s_waitcnt vmcnt(15)
	v_mul_f64 v[245:246], v[239:240], v[133:134]
	v_mul_f64 v[98:99], v[50:51], v[133:134]
	s_waitcnt vmcnt(14) lgkmcnt(7)
	v_mul_f64 v[60:61], v[94:95], v[145:146]
	s_waitcnt vmcnt(13)
	v_mul_f64 v[137:138], v[102:103], v[141:142]
	v_mul_f64 v[141:142], v[46:47], v[141:142]
	;; [unrolled: 1-line block ×3, first 2 shown]
	s_waitcnt vmcnt(12) lgkmcnt(4)
	v_mul_f64 v[44:45], v[106:107], v[153:154]
	v_mul_f64 v[68:69], v[36:37], v[153:154]
	v_fma_f64 v[237:238], v[50:51], v[131:132], -v[245:246]
	s_waitcnt vmcnt(11)
	v_mul_f64 v[50:51], v[96:97], v[149:150]
	v_mul_f64 v[149:150], v[42:43], v[149:150]
	v_fma_f64 v[64:65], v[46:47], v[139:140], -v[137:138]
	v_fma_f64 v[48:49], v[102:103], v[139:140], v[141:142]
	s_waitcnt vmcnt(10)
	v_mul_f64 v[139:140], v[108:109], v[157:158]
	v_mul_f64 v[141:142], v[38:39], v[157:158]
	v_fma_f64 v[153:154], v[40:41], v[143:144], -v[60:61]
	v_fma_f64 v[94:95], v[94:95], v[143:144], v[145:146]
	v_mul_f64 v[40:41], v[58:59], v[161:162]
	v_mul_f64 v[143:144], v[2:3], v[161:162]
	s_waitcnt vmcnt(8)
	v_mul_f64 v[157:158], v[28:29], v[173:174]
	v_fma_f64 v[239:240], v[239:240], v[131:132], v[98:99]
	ds_read2_b64 v[131:134], v209 offset0:96 offset1:151
	ds_read2_b64 v[98:101], v205 offset0:148 offset1:203
	;; [unrolled: 1-line block ×3, first 2 shown]
	ds_read_b64 v[102:103], v255 offset:14960
	v_fma_f64 v[161:162], v[36:37], v[151:152], -v[44:45]
	v_fma_f64 v[106:107], v[106:107], v[151:152], v[68:69]
	s_waitcnt vmcnt(0) lgkmcnt(0)
	s_barrier
	buffer_gl0_inv
	v_mul_f64 v[151:152], v[24:25], v[177:178]
	v_fma_f64 v[145:146], v[42:43], v[147:148], -v[50:51]
	v_mul_f64 v[42:43], v[112:113], v[165:166]
	v_mul_f64 v[50:51], v[18:19], v[165:166]
	v_fma_f64 v[46:47], v[96:97], v[147:148], v[149:150]
	v_mul_f64 v[147:148], v[32:33], v[169:170]
	v_mul_f64 v[96:97], v[118:119], v[169:170]
	v_fma_f64 v[139:140], v[38:39], v[155:156], -v[139:140]
	v_mul_f64 v[38:39], v[120:121], v[181:182]
	v_mul_f64 v[165:166], v[34:35], v[181:182]
	v_fma_f64 v[60:61], v[108:109], v[155:156], v[141:142]
	v_mul_f64 v[149:150], v[131:132], v[173:174]
	v_mul_f64 v[36:37], v[98:99], v[177:178]
	;; [unrolled: 1-line block ×3, first 2 shown]
	v_fma_f64 v[173:174], v[2:3], v[159:160], -v[40:41]
	v_fma_f64 v[143:144], v[58:59], v[159:160], v[143:144]
	v_mul_f64 v[2:3], v[100:101], v[193:194]
	v_mul_f64 v[159:160], v[26:27], v[193:194]
	;; [unrolled: 1-line block ×5, first 2 shown]
	v_add_f64 v[189:190], v[237:238], v[161:162]
	v_mul_f64 v[141:142], v[20:21], v[185:186]
	v_add_f64 v[185:186], v[70:71], -v[231:232]
	v_fma_f64 v[177:178], v[18:19], v[163:164], -v[42:43]
	v_fma_f64 v[112:113], v[112:113], v[163:164], v[50:51]
	v_mul_f64 v[163:164], v[110:111], v[197:198]
	v_fma_f64 v[58:59], v[118:119], v[167:168], v[147:148]
	v_mul_f64 v[118:119], v[137:138], v[212:213]
	v_mul_f64 v[147:148], v[22:23], v[212:213]
	v_fma_f64 v[50:51], v[131:132], v[171:172], v[157:158]
	v_mul_f64 v[131:132], v[102:103], v[216:217]
	v_fma_f64 v[96:97], v[32:33], v[167:168], -v[96:97]
	v_fma_f64 v[68:69], v[28:29], v[171:172], -v[149:150]
	v_mul_f64 v[149:150], v[104:105], v[216:217]
	v_fma_f64 v[44:45], v[24:25], v[175:176], -v[36:37]
	v_fma_f64 v[36:37], v[98:99], v[175:176], v[151:152]
	v_fma_f64 v[40:41], v[34:35], v[179:180], -v[38:39]
	v_fma_f64 v[38:39], v[120:121], v[179:180], v[165:166]
	v_fma_f64 v[42:43], v[20:21], v[183:184], -v[108:109]
	v_fma_f64 v[32:33], v[26:27], v[191:192], -v[2:3]
	v_fma_f64 v[28:29], v[100:101], v[191:192], v[159:160]
	v_add_f64 v[108:109], v[173:174], v[76:77]
	v_add_f64 v[151:152], v[233:234], v[199:200]
	;; [unrolled: 1-line block ×6, first 2 shown]
	v_fma_f64 v[34:35], v[16:17], v[195:196], -v[163:164]
	v_add_f64 v[163:164], v[241:242], v[66:67]
	v_fma_f64 v[26:27], v[22:23], v[210:211], -v[118:119]
	v_fma_f64 v[22:23], v[137:138], v[210:211], v[147:148]
	v_add_f64 v[137:138], v[143:144], v[74:75]
	v_fma_f64 v[16:17], v[104:105], v[214:215], -v[131:132]
	v_add_f64 v[131:132], v[225:226], v[112:113]
	v_add_f64 v[179:180], v[218:219], v[62:63]
	;; [unrolled: 1-line block ×3, first 2 shown]
	v_fma_f64 v[2:3], v[102:103], v[214:215], v[149:150]
	v_add_f64 v[98:99], v[12:13], v[173:174]
	v_add_f64 v[120:121], v[90:91], v[143:144]
	;; [unrolled: 1-line block ×4, first 2 shown]
	v_add_f64 v[210:211], v[241:242], -v[127:128]
	v_fma_f64 v[24:25], v[135:136], v[183:184], v[141:142]
	v_fma_f64 v[20:21], v[30:31], v[187:188], -v[155:156]
	v_fma_f64 v[151:152], v[151:152], -0.5, v[8:9]
	v_fma_f64 v[18:19], v[133:134], v[187:188], v[169:170]
	v_fma_f64 v[8:9], v[165:166], -0.5, v[8:9]
	v_fma_f64 v[100:101], v[100:101], -0.5, v[12:13]
	;; [unrolled: 1-line block ×5, first 2 shown]
	v_add_f64 v[159:160], v[66:67], -v[247:248]
	v_add_f64 v[163:164], v[127:128], -v[241:242]
	v_fma_f64 v[165:166], v[189:190], -0.5, v[10:11]
	v_fma_f64 v[30:31], v[110:111], v[195:196], v[181:182]
	v_fma_f64 v[131:132], v[131:132], -0.5, v[90:91]
	v_fma_f64 v[90:91], v[137:138], -0.5, v[90:91]
	v_fma_f64 v[137:138], v[175:176], -0.5, v[92:93]
	v_fma_f64 v[175:176], v[179:180], -0.5, v[92:93]
	v_add_f64 v[179:180], v[247:248], -v[66:67]
	v_fma_f64 v[189:190], v[191:192], -0.5, v[10:11]
	v_add_f64 v[10:11], v[10:11], v[153:154]
	v_add_f64 v[102:103], v[173:174], -v[122:123]
	v_add_f64 v[104:105], v[76:77], -v[177:178]
	;; [unrolled: 1-line block ×12, first 2 shown]
	v_add_f64 v[171:172], v[114:115], v[220:221]
	v_add_f64 v[181:182], v[235:236], v[231:232]
	v_add_f64 v[183:184], v[220:221], -v[235:236]
	v_add_f64 v[187:188], v[220:221], v[70:71]
	v_add_f64 v[193:194], v[235:236], -v[220:221]
	v_add_f64 v[195:196], v[231:232], -v[70:71]
	v_add_f64 v[212:213], v[239:240], v[106:107]
	v_add_f64 v[214:215], v[94:95], v[48:49]
	;; [unrolled: 1-line block ×3, first 2 shown]
	v_add_f64 v[143:144], v[143:144], -v[74:75]
	v_add_f64 v[98:99], v[98:99], v[122:123]
	v_add_f64 v[122:123], v[122:123], -v[177:178]
	v_add_f64 v[159:160], v[210:211], v[159:160]
	;; [unrolled: 2-line block ×4, first 2 shown]
	v_add_f64 v[10:11], v[10:11], v[237:238]
	v_add_f64 v[191:192], v[218:219], -v[227:228]
	v_add_f64 v[102:103], v[102:103], v[104:105]
	v_add_f64 v[104:105], v[227:228], -v[218:219]
	;; [unrolled: 2-line block ×3, first 2 shown]
	v_fma_f64 v[181:182], v[181:182], -0.5, v[114:115]
	v_add_f64 v[133:134], v[133:134], v[135:136]
	v_fma_f64 v[114:115], v[187:188], -0.5, v[114:115]
	v_add_f64 v[135:136], v[153:154], -v[237:238]
	v_add_f64 v[141:142], v[141:142], v[147:148]
	v_fma_f64 v[187:188], v[212:213], -0.5, v[116:117]
	v_fma_f64 v[212:213], v[214:215], -0.5, v[116:117]
	v_add_f64 v[116:117], v[116:117], v[94:95]
	v_add_f64 v[214:215], v[62:63], -v[229:230]
	v_add_f64 v[147:148], v[64:65], -v[161:162]
	v_add_f64 v[155:156], v[155:156], v[157:158]
	v_add_f64 v[157:158], v[237:238], -v[153:154]
	v_add_f64 v[167:168], v[167:168], v[169:170]
	v_add_f64 v[169:170], v[161:162], -v[64:65]
	v_add_f64 v[183:184], v[183:184], v[185:186]
	v_add_f64 v[185:186], v[94:95], -v[239:240]
	v_add_f64 v[193:194], v[193:194], v[195:196]
	v_add_f64 v[195:196], v[48:49], -v[106:107]
	v_add_f64 v[120:121], v[120:121], v[225:226]
	v_add_f64 v[216:217], v[225:226], -v[112:113]
	v_add_f64 v[173:174], v[173:174], -v[76:77]
	;; [unrolled: 1-line block ×3, first 2 shown]
	v_add_f64 v[171:172], v[171:172], v[235:236]
	v_add_f64 v[225:226], v[235:236], -v[231:232]
	v_add_f64 v[233:234], v[233:234], -v[199:200]
	;; [unrolled: 1-line block ×3, first 2 shown]
	v_add_f64 v[92:93], v[92:93], v[227:228]
	v_add_f64 v[197:198], v[197:198], v[127:128]
	v_add_f64 v[237:238], v[237:238], -v[161:162]
	v_add_f64 v[179:180], v[210:211], v[179:180]
	v_add_f64 v[210:211], v[96:97], v[139:140]
	;; [unrolled: 1-line block ×5, first 2 shown]
	v_fma_f64 v[199:200], v[143:144], s[6:7], v[100:101]
	v_fma_f64 v[100:101], v[143:144], s[14:15], v[100:101]
	v_add_f64 v[10:11], v[10:11], v[161:162]
	v_fma_f64 v[161:162], v[122:123], s[6:7], v[90:91]
	v_fma_f64 v[90:91], v[122:123], s[14:15], v[90:91]
	v_add_f64 v[191:192], v[191:192], v[214:215]
	v_add_f64 v[214:215], v[145:146], -v[96:97]
	v_add_f64 v[104:105], v[104:105], v[118:119]
	v_add_f64 v[118:119], v[68:69], -v[139:140]
	;; [unrolled: 2-line block ×4, first 2 shown]
	v_add_f64 v[185:186], v[185:186], v[195:196]
	v_add_f64 v[195:196], v[4:5], v[145:146]
	v_add_f64 v[222:223], v[222:223], -v[72:73]
	v_add_f64 v[227:228], v[227:228], -v[229:230]
	;; [unrolled: 1-line block ×4, first 2 shown]
	v_add_f64 v[116:117], v[116:117], v[239:240]
	v_add_f64 v[239:240], v[239:240], -v[106:107]
	v_add_f64 v[153:154], v[153:154], -v[64:65]
	v_add_f64 v[171:172], v[171:172], v[231:232]
	v_fma_f64 v[231:232], v[216:217], s[14:15], v[12:13]
	v_fma_f64 v[12:13], v[216:217], s[6:7], v[12:13]
	v_add_f64 v[197:198], v[197:198], v[247:248]
	v_add_f64 v[241:242], v[58:59], v[60:61]
	;; [unrolled: 1-line block ×3, first 2 shown]
	v_fma_f64 v[229:230], v[173:174], s[14:15], v[131:132]
	v_fma_f64 v[131:132], v[173:174], s[6:7], v[131:132]
	v_add_f64 v[76:77], v[98:99], v[76:77]
	v_fma_f64 v[98:99], v[220:221], s[6:7], v[151:152]
	v_fma_f64 v[151:152], v[220:221], s[14:15], v[151:152]
	;; [unrolled: 1-line block ×10, first 2 shown]
	v_fma_f64 v[210:211], v[210:211], -0.5, v[4:5]
	v_fma_f64 v[4:5], v[177:178], -0.5, v[4:5]
	v_fma_f64 v[177:178], v[218:219], s[6:7], v[108:109]
	v_fma_f64 v[108:109], v[218:219], s[14:15], v[108:109]
	v_add_f64 v[127:128], v[127:128], -v[247:248]
	v_add_f64 v[118:119], v[214:215], v[118:119]
	v_add_f64 v[214:215], v[46:47], -v[50:51]
	v_add_f64 v[147:148], v[147:148], v[169:170]
	;; [unrolled: 2-line block ×3, first 2 shown]
	v_add_f64 v[112:113], v[120:121], v[112:113]
	v_add_f64 v[120:121], v[52:53], v[46:47]
	v_add_f64 v[145:146], v[145:146], -v[68:69]
	v_add_f64 v[106:107], v[116:117], v[106:107]
	v_fma_f64 v[231:232], v[143:144], s[4:5], v[231:232]
	v_fma_f64 v[12:13], v[143:144], s[12:13], v[12:13]
	v_add_f64 v[143:144], v[46:47], v[50:51]
	v_fma_f64 v[229:230], v[122:123], s[12:13], v[229:230]
	v_fma_f64 v[122:123], v[122:123], s[4:5], v[131:132]
	;; [unrolled: 1-line block ×4, first 2 shown]
	v_add_f64 v[72:73], v[149:150], v[72:73]
	v_add_f64 v[149:150], v[40:41], v[42:43]
	v_fma_f64 v[98:99], v[225:226], s[4:5], v[98:99]
	v_fma_f64 v[151:152], v[225:226], s[12:13], v[151:152]
	;; [unrolled: 1-line block ×6, first 2 shown]
	v_fma_f64 v[225:226], v[241:242], -0.5, v[52:53]
	v_add_f64 v[70:71], v[171:172], v[70:71]
	v_fma_f64 v[171:172], v[235:236], s[14:15], v[137:138]
	v_fma_f64 v[137:138], v[235:236], s[6:7], v[137:138]
	;; [unrolled: 1-line block ×5, first 2 shown]
	v_add_f64 v[66:67], v[197:198], v[66:67]
	v_fma_f64 v[197:198], v[239:240], s[14:15], v[189:190]
	v_fma_f64 v[189:190], v[239:240], s[6:7], v[189:190]
	;; [unrolled: 1-line block ×5, first 2 shown]
	v_add_f64 v[96:97], v[96:97], -v[139:140]
	v_add_f64 v[116:117], v[46:47], -v[58:59]
	v_add_f64 v[139:140], v[195:196], v[139:140]
	v_add_f64 v[195:196], v[50:51], -v[60:61]
	v_add_f64 v[120:121], v[120:121], v[58:59]
	v_fma_f64 v[131:132], v[233:234], s[12:13], v[131:132]
	v_fma_f64 v[181:182], v[233:234], s[4:5], v[181:182]
	;; [unrolled: 1-line block ×10, first 2 shown]
	v_add_f64 v[92:93], v[92:93], v[62:63]
	v_fma_f64 v[62:63], v[214:215], s[6:7], v[210:211]
	v_fma_f64 v[210:211], v[214:215], s[14:15], v[210:211]
	;; [unrolled: 1-line block ×6, first 2 shown]
	v_fma_f64 v[52:53], v[143:144], -0.5, v[52:53]
	v_fma_f64 v[143:144], v[149:150], -0.5, v[6:7]
	v_fma_f64 v[149:150], v[239:240], s[4:5], v[222:223]
	v_fma_f64 v[222:223], v[145:146], s[14:15], v[225:226]
	;; [unrolled: 1-line block ×4, first 2 shown]
	v_add_f64 v[106:107], v[106:107], v[48:49]
	v_fma_f64 v[48:49], v[237:238], s[12:13], v[227:228]
	v_add_f64 v[10:11], v[10:11], v[64:65]
	v_add_f64 v[64:65], v[44:45], v[20:21]
	v_fma_f64 v[225:226], v[145:146], s[6:7], v[225:226]
	v_add_f64 v[74:75], v[112:113], v[74:75]
	v_add_f64 v[112:113], v[6:7], v[44:45]
	v_fma_f64 v[233:234], v[235:236], s[12:13], v[233:234]
	v_fma_f64 v[175:176], v[235:236], s[4:5], v[175:176]
	v_add_f64 v[235:236], v[36:37], -v[18:19]
	v_add_f64 v[120:121], v[120:121], v[60:61]
	v_fma_f64 v[165:166], v[239:240], s[12:13], v[165:166]
	v_fma_f64 v[187:188], v[237:238], s[4:5], v[187:188]
	;; [unrolled: 1-line block ×30, first 2 shown]
	v_add_f64 v[116:117], v[116:117], v[195:196]
	v_fma_f64 v[6:7], v[64:65], -0.5, v[6:7]
	v_add_f64 v[64:65], v[139:140], v[68:69]
	v_fma_f64 v[68:69], v[96:97], s[4:5], v[225:226]
	v_fma_f64 v[139:140], v[96:97], s[6:7], v[52:53]
	v_add_f64 v[46:47], v[58:59], -v[46:47]
	v_add_f64 v[58:59], v[60:61], -v[50:51]
	v_fma_f64 v[98:99], v[155:156], s[10:11], v[98:99]
	v_fma_f64 v[155:156], v[183:184], s[10:11], v[181:182]
	;; [unrolled: 1-line block ×8, first 2 shown]
	v_add_f64 v[177:178], v[38:39], -v[24:25]
	v_fma_f64 v[153:154], v[179:180], s[10:11], v[153:154]
	v_fma_f64 v[62:63], v[118:119], s[10:11], v[62:63]
	;; [unrolled: 1-line block ×4, first 2 shown]
	v_add_f64 v[169:170], v[38:39], v[24:25]
	v_fma_f64 v[4:5], v[147:148], s[10:11], v[4:5]
	v_fma_f64 v[52:53], v[96:97], s[14:15], v[52:53]
	v_add_f64 v[60:61], v[112:113], v[40:41]
	v_fma_f64 v[96:97], v[235:236], s[6:7], v[143:144]
	v_add_f64 v[112:113], v[36:37], v[18:19]
	v_add_f64 v[147:148], v[44:45], -v[40:41]
	v_add_f64 v[179:180], v[20:21], -v[42:43]
	v_add_f64 v[120:121], v[120:121], v[50:51]
	v_add_f64 v[50:51], v[34:35], v[26:27]
	v_fma_f64 v[181:182], v[116:117], s[10:11], v[48:49]
	v_fma_f64 v[48:49], v[235:236], s[14:15], v[143:144]
	v_add_f64 v[185:186], v[32:33], v[16:17]
	v_fma_f64 v[131:132], v[183:184], s[10:11], v[131:132]
	v_add_f64 v[183:184], v[40:41], -v[44:45]
	v_add_f64 v[187:188], v[42:43], -v[20:21]
	v_fma_f64 v[68:69], v[116:117], s[10:11], v[68:69]
	v_fma_f64 v[116:117], v[145:146], s[12:13], v[139:140]
	v_add_f64 v[139:140], v[30:31], v[22:23]
	v_add_f64 v[189:190], v[54:55], v[36:37]
	;; [unrolled: 1-line block ×4, first 2 shown]
	v_fma_f64 v[143:144], v[177:178], s[14:15], v[6:7]
	v_fma_f64 v[169:170], v[169:170], -0.5, v[54:55]
	v_add_f64 v[40:41], v[40:41], -v[42:43]
	v_add_f64 v[60:61], v[60:61], v[42:43]
	v_fma_f64 v[6:7], v[177:178], s[6:7], v[6:7]
	v_fma_f64 v[42:43], v[112:113], -0.5, v[54:55]
	v_fma_f64 v[54:55], v[177:178], s[4:5], v[96:97]
	v_add_f64 v[96:97], v[147:148], v[179:180]
	v_add_f64 v[112:113], v[0:1], v[32:33]
	v_fma_f64 v[50:51], v[50:51], -0.5, v[0:1]
	v_add_f64 v[147:148], v[30:31], -v[22:23]
	v_fma_f64 v[48:49], v[177:178], s[12:13], v[48:49]
	v_fma_f64 v[0:1], v[185:186], -0.5, v[0:1]
	v_add_f64 v[177:178], v[56:57], v[28:29]
	v_add_f64 v[44:45], v[44:45], -v[20:21]
	v_fma_f64 v[52:53], v[145:146], s[4:5], v[52:53]
	v_add_f64 v[145:146], v[28:29], -v[2:3]
	v_add_f64 v[179:180], v[183:184], v[187:188]
	v_fma_f64 v[139:140], v[139:140], -0.5, v[56:57]
	v_add_f64 v[183:184], v[32:33], -v[16:17]
	v_add_f64 v[185:186], v[189:190], v[38:39]
	v_add_f64 v[189:190], v[34:35], -v[26:27]
	v_fma_f64 v[56:57], v[58:59], -0.5, v[56:57]
	v_add_f64 v[197:198], v[32:33], -v[34:35]
	v_add_f64 v[32:33], v[34:35], -v[32:33]
	v_fma_f64 v[114:115], v[193:194], s[10:11], v[114:115]
	v_add_f64 v[58:59], v[36:37], -v[38:39]
	v_add_f64 v[191:192], v[18:19], -v[24:25]
	v_fma_f64 v[193:194], v[40:41], s[6:7], v[42:43]
	v_add_f64 v[36:37], v[38:39], -v[36:37]
	v_add_f64 v[112:113], v[112:113], v[34:35]
	v_add_f64 v[34:35], v[26:27], -v[16:17]
	v_add_f64 v[38:39], v[24:25], -v[18:19]
	v_fma_f64 v[42:43], v[40:41], s[14:15], v[42:43]
	v_fma_f64 v[212:213], v[147:148], s[14:15], v[0:1]
	v_add_f64 v[177:178], v[177:178], v[30:31]
	v_fma_f64 v[187:188], v[44:45], s[14:15], v[169:170]
	v_fma_f64 v[0:1], v[147:148], s[6:7], v[0:1]
	;; [unrolled: 1-line block ×4, first 2 shown]
	v_add_f64 v[216:217], v[28:29], -v[30:31]
	v_fma_f64 v[214:215], v[183:184], s[14:15], v[139:140]
	v_add_f64 v[218:219], v[2:3], -v[22:23]
	v_fma_f64 v[139:140], v[183:184], s[6:7], v[139:140]
	v_fma_f64 v[220:221], v[189:190], s[6:7], v[56:57]
	v_add_f64 v[28:29], v[30:31], -v[28:29]
	v_add_f64 v[30:31], v[22:23], -v[2:3]
	v_fma_f64 v[56:57], v[189:190], s[14:15], v[56:57]
	v_fma_f64 v[169:170], v[44:45], s[6:7], v[169:170]
	v_add_f64 v[210:211], v[16:17], -v[26:27]
	v_fma_f64 v[143:144], v[235:236], s[4:5], v[143:144]
	v_fma_f64 v[6:7], v[235:236], s[12:13], v[6:7]
	v_add_f64 v[26:27], v[112:113], v[26:27]
	v_add_f64 v[32:33], v[32:33], v[34:35]
	;; [unrolled: 1-line block ×4, first 2 shown]
	v_fma_f64 v[112:113], v[145:146], s[4:5], v[212:213]
	v_add_f64 v[22:23], v[177:178], v[22:23]
	v_fma_f64 v[185:186], v[40:41], s[12:13], v[187:188]
	v_add_f64 v[36:37], v[36:37], v[38:39]
	v_fma_f64 v[38:39], v[44:45], s[4:5], v[42:43]
	v_fma_f64 v[42:43], v[147:148], s[4:5], v[195:196]
	;; [unrolled: 1-line block ×5, first 2 shown]
	v_add_f64 v[145:146], v[216:217], v[218:219]
	v_fma_f64 v[139:140], v[189:190], s[4:5], v[139:140]
	v_fma_f64 v[147:148], v[183:184], s[12:13], v[220:221]
	v_add_f64 v[28:29], v[28:29], v[30:31]
	v_fma_f64 v[30:31], v[183:184], s[4:5], v[56:57]
	v_fma_f64 v[40:41], v[40:41], s[4:5], v[169:170]
	;; [unrolled: 1-line block ×3, first 2 shown]
	v_add_f64 v[44:45], v[197:198], v[210:211]
	v_fma_f64 v[116:117], v[46:47], s[10:11], v[116:117]
	v_add_f64 v[16:17], v[26:27], v[16:17]
	v_fma_f64 v[177:178], v[46:47], s[10:11], v[52:53]
	;; [unrolled: 2-line block ×3, first 2 shown]
	v_fma_f64 v[26:27], v[32:33], s[10:11], v[112:113]
	v_add_f64 v[112:113], v[22:23], v[2:3]
	v_mov_b32_e32 v2, 0xc08
	v_mov_b32_e32 v3, 3
	v_fma_f64 v[52:53], v[179:180], s[10:11], v[143:144]
	v_fma_f64 v[6:7], v[179:180], s[10:11], v[6:7]
	;; [unrolled: 1-line block ×3, first 2 shown]
	v_cndmask_b32_e64 v22, 0, 0xc08, s0
	v_lshlrev_b32_e32 v23, 3, v80
	v_fma_f64 v[185:186], v[145:146], s[10:11], v[34:35]
	v_fma_f64 v[139:140], v[145:146], s[10:11], v[139:140]
	v_mul_u32_u24_sdwa v2, v79, v2 dst_sel:DWORD dst_unused:UNUSED_PAD src0_sel:WORD_0 src1_sel:DWORD
	v_fma_f64 v[145:146], v[28:29], s[10:11], v[147:148]
	v_fma_f64 v[147:148], v[28:29], s[10:11], v[30:31]
	v_lshlrev_b32_sdwa v28, v3, v82 dst_sel:DWORD dst_unused:UNUSED_PAD src0_sel:DWORD src1_sel:BYTE_0
	v_fma_f64 v[48:49], v[96:97], s[10:11], v[48:49]
	v_add_f64 v[96:97], v[24:25], v[18:19]
	v_fma_f64 v[18:19], v[44:45], s[10:11], v[42:43]
	v_fma_f64 v[0:1], v[32:33], s[10:11], v[0:1]
	;; [unrolled: 1-line block ×3, first 2 shown]
	ds_write2_b64 v255, v[76:77], v[199:200] offset1:77
	v_add3_u32 v76, 0, v22, v23
	v_add3_u32 v77, 0, v2, v28
	ds_write2_b64 v255, v[102:103], v[12:13] offset0:154 offset1:231
	ds_write_b64 v255, v[100:101] offset:2464
	v_lshl_add_u32 v79, v83, 3, 0
	ds_write2_b64 v76, v[66:67], v[167:168] offset1:77
	ds_write2_b64 v76, v[159:160], v[14:15] offset0:154 offset1:231
	ds_write_b64 v76, v[108:109] offset:2464
	ds_write2_b64 v77, v[72:73], v[98:99] offset1:77
	ds_write2_b64 v77, v[151:152], v[8:9] offset0:154 offset1:231
	v_mul_u32_u24_e32 v2, 0xc08, v84
	v_lshlrev_b32_sdwa v8, v3, v85 dst_sel:DWORD dst_unused:UNUSED_PAD src0_sel:DWORD src1_sel:WORD_0
	v_mul_u32_u24_e32 v9, 0xc08, v86
	v_lshlrev_b32_sdwa v3, v3, v87 dst_sel:DWORD dst_unused:UNUSED_PAD src0_sel:DWORD src1_sel:WORD_0
	v_lshl_add_u32 v80, v89, 3, 0
	v_add_nc_u32_e32 v72, 0x1800, v79
	v_add3_u32 v73, 0, v2, v8
	v_fma_f64 v[179:180], v[58:59], s[10:11], v[40:41]
	v_add3_u32 v82, 0, v9, v3
	v_add_nc_u32_e32 v83, 0x3000, v80
	v_fma_f64 v[169:170], v[36:37], s[10:11], v[169:170]
	v_fma_f64 v[183:184], v[36:37], s[10:11], v[38:39]
	ds_write_b64 v77, v[141:142] offset:2464
	ds_write2_b64 v72, v[10:11], v[127:128] offset0:2 offset1:79
	ds_write2_b64 v72, v[149:150], v[94:95] offset0:156 offset1:233
	ds_write_b64 v79, v[135:136] offset:8624
	ds_write2_b64 v73, v[64:65], v[62:63] offset1:77
	ds_write2_b64 v73, v[137:138], v[4:5] offset0:154 offset1:231
	ds_write_b64 v73, v[118:119] offset:2464
	ds_write2_b64 v82, v[20:21], v[46:47] offset1:77
	ds_write2_b64 v82, v[52:53], v[6:7] offset0:154 offset1:231
	ds_write_b64 v82, v[48:49] offset:2464
	ds_write2_b64 v83, v[16:17], v[18:19] offset0:4 offset1:81
	ds_write2_b64 v83, v[26:27], v[0:1] offset0:158 offset1:235
	ds_write_b64 v80, v[24:25] offset:14784
	s_waitcnt lgkmcnt(0)
	s_barrier
	buffer_gl0_inv
	ds_read2_b64 v[0:3], v255 offset1:55
	ds_read2_b64 v[12:15], v202 offset0:74 offset1:129
	ds_read2_b64 v[4:7], v81 offset0:2 offset1:57
	;; [unrolled: 1-line block ×16, first 2 shown]
	ds_read_b64 v[127:128], v255 offset:14960
	s_waitcnt lgkmcnt(0)
	s_barrier
	buffer_gl0_inv
	ds_write2_b64 v255, v[74:75], v[110:111] offset1:77
	ds_write2_b64 v255, v[133:134], v[90:91] offset0:154 offset1:231
	ds_write_b64 v255, v[122:123] offset:2464
	ds_write2_b64 v76, v[92:93], v[163:164] offset1:77
	ds_write2_b64 v76, v[173:174], v[104:105] offset0:154 offset1:231
	ds_write_b64 v76, v[171:172] offset:2464
	;; [unrolled: 3-line block ×3, first 2 shown]
	ds_write2_b64 v72, v[106:107], v[157:158] offset0:2 offset1:79
	ds_write2_b64 v72, v[175:176], v[153:154] offset0:156 offset1:233
	ds_write_b64 v79, v[165:166] offset:8624
	ds_write2_b64 v73, v[120:121], v[181:182] offset1:77
	ds_write2_b64 v73, v[116:117], v[177:178] offset0:154 offset1:231
	ds_write_b64 v73, v[68:69] offset:2464
	ds_write2_b64 v82, v[96:97], v[143:144] offset1:77
	ds_write2_b64 v82, v[169:170], v[183:184] offset0:154 offset1:231
	ds_write_b64 v82, v[179:180] offset:2464
	ds_write2_b64 v83, v[112:113], v[185:186] offset0:4 offset1:81
	ds_write2_b64 v83, v[145:146], v[147:148] offset0:158 offset1:235
	ds_write_b64 v80, v[139:140] offset:14784
	s_waitcnt lgkmcnt(0)
	s_barrier
	buffer_gl0_inv
	s_and_saveexec_b32 s0, vcc_lo
	s_cbranch_execz .LBB0_21
; %bb.20:
	v_lshlrev_b32_e32 v123, 2, v130
	v_add_nc_u32_e32 v199, 0x1000, v255
	v_add_nc_u32_e32 v203, 0x2800, v255
	;; [unrolled: 1-line block ×4, first 2 shown]
	v_lshlrev_b64 v[68:69], 4, v[123:124]
	v_lshlrev_b32_e32 v123, 2, v78
	v_add_nc_u32_e32 v211, 0x800, v255
	v_add_nc_u32_e32 v223, 0x1800, v255
	;; [unrolled: 1-line block ×4, first 2 shown]
	v_add_co_u32 v70, vcc_lo, s8, v68
	v_add_co_ci_u32_e32 v71, vcc_lo, s9, v69, vcc_lo
	v_lshlrev_b64 v[80:81], 4, v[123:124]
	v_add_co_u32 v68, vcc_lo, 0x1000, v70
	v_add_co_ci_u32_e32 v69, vcc_lo, 0, v71, vcc_lo
	v_add_co_u32 v88, vcc_lo, 0x17a0, v70
	v_add_co_ci_u32_e32 v89, vcc_lo, 0, v71, vcc_lo
	;; [unrolled: 2-line block ×3, first 2 shown]
	v_lshlrev_b32_e32 v123, 2, v129
	v_add_co_u32 v80, vcc_lo, 0x1000, v84
	v_add_co_ci_u32_e32 v81, vcc_lo, 0, v85, vcc_lo
	v_add_co_u32 v92, vcc_lo, 0x17a0, v84
	s_clause 0x2
	global_load_dwordx4 v[76:79], v[68:69], off offset:1952
	global_load_dwordx4 v[68:71], v[88:89], off offset:48
	global_load_dwordx4 v[72:75], v[88:89], off offset:32
	v_add_co_ci_u32_e32 v93, vcc_lo, 0, v85, vcc_lo
	global_load_dwordx4 v[84:87], v[80:81], off offset:1952
	v_lshlrev_b64 v[82:83], 4, v[123:124]
	v_lshlrev_b32_e32 v123, 2, v250
	v_add_nc_u32_e32 v195, 0x400, v255
	v_add_co_u32 v94, vcc_lo, s8, v82
	v_add_co_ci_u32_e32 v95, vcc_lo, s9, v83, vcc_lo
	global_load_dwordx4 v[80:83], v[92:93], off offset:32
	v_add_co_u32 v90, vcc_lo, 0x1000, v94
	v_add_co_ci_u32_e32 v91, vcc_lo, 0, v95, vcc_lo
	v_add_co_u32 v100, vcc_lo, 0x17a0, v94
	v_add_co_ci_u32_e32 v101, vcc_lo, 0, v95, vcc_lo
	s_clause 0x3
	global_load_dwordx4 v[96:99], v[88:89], off offset:16
	global_load_dwordx4 v[108:111], v[92:93], off offset:48
	;; [unrolled: 1-line block ×4, first 2 shown]
	v_lshlrev_b64 v[94:95], 4, v[123:124]
	v_lshlrev_b32_e32 v123, 2, v249
	v_add_co_u32 v112, vcc_lo, s8, v94
	v_add_co_ci_u32_e32 v113, vcc_lo, s9, v95, vcc_lo
	global_load_dwordx4 v[92:95], v[92:93], off offset:16
	v_add_co_u32 v102, vcc_lo, 0x1000, v112
	v_add_co_ci_u32_e32 v103, vcc_lo, 0, v113, vcc_lo
	s_clause 0x1
	global_load_dwordx4 v[131:134], v[100:101], off offset:32
	global_load_dwordx4 v[135:138], v[100:101], off offset:16
	v_add_co_u32 v112, vcc_lo, 0x17a0, v112
	v_lshlrev_b64 v[100:101], 4, v[123:124]
	v_add_co_ci_u32_e32 v113, vcc_lo, 0, v113, vcc_lo
	s_clause 0x3
	global_load_dwordx4 v[139:142], v[102:103], off offset:1952
	global_load_dwordx4 v[143:146], v[112:113], off offset:48
	global_load_dwordx4 v[147:150], v[112:113], off offset:32
	global_load_dwordx4 v[151:154], v[112:113], off offset:16
	v_add_co_u32 v112, vcc_lo, s8, v100
	v_add_co_ci_u32_e32 v113, vcc_lo, s9, v101, vcc_lo
	v_lshlrev_b32_e32 v123, 2, v201
	v_add_co_u32 v100, vcc_lo, 0x17a0, v112
	v_add_co_ci_u32_e32 v101, vcc_lo, 0, v113, vcc_lo
	v_add_co_u32 v112, vcc_lo, 0x1000, v112
	v_add_co_ci_u32_e32 v113, vcc_lo, 0, v113, vcc_lo
	s_clause 0x3
	global_load_dwordx4 v[155:158], v[100:101], off offset:32
	global_load_dwordx4 v[159:162], v[100:101], off offset:16
	;; [unrolled: 1-line block ×4, first 2 shown]
	v_lshlrev_b64 v[102:103], 4, v[123:124]
	v_add_co_u32 v102, vcc_lo, s8, v102
	v_add_co_ci_u32_e32 v103, vcc_lo, s9, v103, vcc_lo
	v_add_co_u32 v100, vcc_lo, 0x1000, v102
	v_add_co_ci_u32_e32 v101, vcc_lo, 0, v103, vcc_lo
	;; [unrolled: 2-line block ×3, first 2 shown]
	s_clause 0x3
	global_load_dwordx4 v[100:103], v[100:101], off offset:1952
	global_load_dwordx4 v[112:115], v[116:117], off offset:32
	;; [unrolled: 1-line block ×4, first 2 shown]
	ds_read2_b64 v[171:174], v199 offset0:148 offset1:203
	ds_read_b64 v[225:226], v255 offset:14960
	ds_read2_b64 v[175:178], v203 offset0:150 offset1:205
	ds_read2_b64 v[179:182], v255 offset0:110 offset1:165
	;; [unrolled: 1-line block ×3, first 2 shown]
	v_add_co_u32 v229, vcc_lo, 0x17a0, v125
	v_add_co_ci_u32_e32 v230, vcc_lo, 0, v126, vcc_lo
	v_add_co_u32 v125, vcc_lo, 0x1000, v125
	v_add_co_ci_u32_e32 v126, vcc_lo, 0, v126, vcc_lo
	ds_read2_b64 v[187:190], v215 offset0:76 offset1:131
	s_waitcnt vmcnt(23) lgkmcnt(5)
	v_mul_f64 v[219:220], v[76:77], v[173:174]
	v_mul_f64 v[221:222], v[78:79], v[173:174]
	s_waitcnt vmcnt(21) lgkmcnt(3)
	v_mul_f64 v[233:234], v[72:73], v[177:178]
	v_mul_f64 v[235:236], v[74:75], v[177:178]
	;; [unrolled: 1-line block ×3, first 2 shown]
	s_waitcnt vmcnt(20)
	v_mul_f64 v[227:228], v[84:85], v[171:172]
	v_mul_f64 v[231:232], v[86:87], v[171:172]
	ds_read2_b64 v[171:174], v211 offset0:74 offset1:129
	ds_read2_b64 v[191:194], v191 offset0:94 offset1:149
	;; [unrolled: 1-line block ×6, first 2 shown]
	s_waitcnt vmcnt(19)
	v_mul_f64 v[237:238], v[80:81], v[175:176]
	v_mul_f64 v[239:240], v[82:83], v[175:176]
	ds_read2_b64 v[175:178], v251 offset0:114 offset1:169
	ds_read2_b64 v[211:214], v211 offset0:184 offset1:239
	ds_read2_b64 v[215:218], v215 offset0:186 offset1:241
	v_fma_f64 v[78:79], v[66:67], v[78:79], v[219:220]
	s_waitcnt vmcnt(17) lgkmcnt(10)
	v_mul_f64 v[241:242], v[108:109], v[185:186]
	v_mul_f64 v[243:244], v[110:111], v[185:186]
	v_fma_f64 v[66:67], v[66:67], v[76:77], -v[221:222]
	ds_read2_b64 v[219:222], v223 offset0:2 offset1:57
	s_waitcnt vmcnt(15)
	v_mul_f64 v[76:77], v[104:105], v[183:184]
	v_mul_f64 v[245:246], v[106:107], v[183:184]
	v_fma_f64 v[247:248], v[64:65], v[86:87], v[227:228]
	v_fma_f64 v[64:65], v[64:65], v[84:85], -v[231:232]
	s_clause 0x1
	global_load_dwordx4 v[84:87], v[125:126], off offset:1952
	global_load_dwordx4 v[183:186], v[229:230], off offset:48
	v_mul_f64 v[125:126], v[68:69], v[225:226]
	s_clause 0x1
	global_load_dwordx4 v[225:228], v[229:230], off offset:32
	global_load_dwordx4 v[229:232], v[229:230], off offset:16
	v_fma_f64 v[74:75], v[62:63], v[74:75], v[233:234]
	v_fma_f64 v[62:63], v[62:63], v[72:73], -v[235:236]
	s_waitcnt lgkmcnt(6)
	v_mul_f64 v[233:234], v[88:89], v[201:202]
	v_fma_f64 v[68:69], v[127:128], v[68:69], -v[249:250]
	v_fma_f64 v[72:73], v[60:61], v[82:83], v[237:238]
	v_fma_f64 v[60:61], v[60:61], v[80:81], -v[239:240]
	v_mul_f64 v[80:81], v[96:97], v[187:188]
	v_mul_f64 v[82:83], v[98:99], v[187:188]
	s_waitcnt vmcnt(18)
	v_mul_f64 v[187:188], v[92:93], v[193:194]
	v_mul_f64 v[193:194], v[94:95], v[193:194]
	v_fma_f64 v[110:111], v[58:59], v[110:111], v[241:242]
	v_fma_f64 v[58:59], v[58:59], v[108:109], -v[243:244]
	s_waitcnt vmcnt(16)
	v_mul_f64 v[108:109], v[135:136], v[191:192]
	v_mul_f64 v[191:192], v[137:138], v[191:192]
	v_fma_f64 v[76:77], v[56:57], v[106:107], v[76:77]
	v_fma_f64 v[104:105], v[56:57], v[104:105], -v[245:246]
	s_waitcnt lgkmcnt(5)
	v_mul_f64 v[56:57], v[131:132], v[205:206]
	v_mul_f64 v[106:107], v[90:91], v[201:202]
	;; [unrolled: 1-line block ×3, first 2 shown]
	s_waitcnt vmcnt(12) lgkmcnt(4)
	v_mul_f64 v[205:206], v[151:152], v[209:210]
	v_mul_f64 v[235:236], v[139:140], v[199:200]
	v_fma_f64 v[70:71], v[127:128], v[70:71], v[125:126]
	v_mul_f64 v[125:126], v[147:148], v[203:204]
	s_waitcnt lgkmcnt(3)
	v_mul_f64 v[127:128], v[143:144], v[177:178]
	v_mul_f64 v[199:200], v[141:142], v[199:200]
	v_fma_f64 v[90:91], v[50:51], v[90:91], v[233:234]
	v_mul_f64 v[177:178], v[145:146], v[177:178]
	v_fma_f64 v[80:81], v[8:9], v[98:99], v[80:81]
	s_waitcnt vmcnt(10)
	v_mul_f64 v[237:238], v[159:160], v[207:208]
	v_fma_f64 v[8:9], v[8:9], v[96:97], -v[82:83]
	s_waitcnt vmcnt(9) lgkmcnt(2)
	v_mul_f64 v[82:83], v[163:164], v[213:214]
	s_waitcnt vmcnt(8)
	v_mul_f64 v[96:97], v[167:168], v[175:176]
	v_mul_f64 v[98:99], v[169:170], v[175:176]
	s_waitcnt lgkmcnt(1)
	v_mul_f64 v[175:176], v[155:156], v[217:218]
	v_fma_f64 v[94:95], v[54:55], v[94:95], v[187:188]
	v_fma_f64 v[54:55], v[54:55], v[92:93], -v[193:194]
	v_mul_f64 v[92:93], v[157:158], v[217:218]
	v_fma_f64 v[108:109], v[52:53], v[137:138], v[108:109]
	v_fma_f64 v[56:57], v[46:47], v[133:134], v[56:57]
	v_fma_f64 v[50:51], v[50:51], v[88:89], -v[106:107]
	v_fma_f64 v[52:53], v[52:53], v[135:136], -v[191:192]
	;; [unrolled: 1-line block ×3, first 2 shown]
	v_mul_f64 v[209:210], v[153:154], v[209:210]
	v_mul_f64 v[203:204], v[149:150], v[203:204]
	;; [unrolled: 1-line block ×4, first 2 shown]
	v_fma_f64 v[88:89], v[38:39], v[153:154], v[205:206]
	v_fma_f64 v[106:107], v[48:49], v[141:142], v[235:236]
	;; [unrolled: 1-line block ×4, first 2 shown]
	v_fma_f64 v[131:132], v[48:49], v[139:140], -v[199:200]
	v_fma_f64 v[133:134], v[36:37], v[161:162], v[237:238]
	v_fma_f64 v[82:83], v[26:27], v[165:166], v[82:83]
	;; [unrolled: 1-line block ×3, first 2 shown]
	v_fma_f64 v[141:142], v[40:41], v[167:168], -v[98:99]
	v_fma_f64 v[135:136], v[30:31], v[157:158], v[175:176]
	v_add_f64 v[98:99], v[78:79], v[171:172]
	v_add_f64 v[153:154], v[247:248], v[110:111]
	v_fma_f64 v[145:146], v[30:31], v[155:156], -v[92:93]
	v_add_f64 v[155:156], v[94:95], v[72:73]
	v_add_f64 v[167:168], v[12:13], v[66:67]
	;; [unrolled: 1-line block ×3, first 2 shown]
	v_fma_f64 v[42:43], v[42:43], v[143:144], -v[177:178]
	v_add_f64 v[201:202], v[52:53], v[46:47]
	v_fma_f64 v[38:39], v[38:39], v[151:152], -v[209:210]
	v_fma_f64 v[44:45], v[44:45], v[147:148], -v[203:204]
	v_fma_f64 v[143:144], v[36:37], v[159:160], -v[207:208]
	v_fma_f64 v[139:140], v[26:27], v[163:164], -v[213:214]
	v_add_f64 v[26:27], v[80:81], -v[78:79]
	v_add_f64 v[30:31], v[74:75], -v[70:71]
	;; [unrolled: 1-line block ×5, first 2 shown]
	v_add_f64 v[96:97], v[80:81], v[74:75]
	v_add_f64 v[147:148], v[8:9], -v[66:67]
	v_add_f64 v[151:152], v[80:81], -v[74:75]
	v_add_f64 v[157:158], v[90:91], v[76:77]
	v_add_f64 v[159:160], v[108:109], v[56:57]
	v_add_f64 v[161:162], v[66:67], -v[8:9]
	v_add_f64 v[165:166], v[8:9], v[62:63]
	v_add_f64 v[177:178], v[64:65], v[58:59]
	;; [unrolled: 1-line block ×8, first 2 shown]
	v_add_f64 v[235:236], v[54:55], -v[64:65]
	v_fma_f64 v[153:154], v[153:154], -0.5, v[197:198]
	v_fma_f64 v[155:156], v[155:156], -0.5, v[197:198]
	v_add_f64 v[197:198], v[60:61], -v[58:59]
	v_add_f64 v[80:81], v[80:81], v[98:99]
	v_add_f64 v[8:9], v[8:9], v[167:168]
	;; [unrolled: 1-line block ×3, first 2 shown]
	v_fma_f64 v[199:200], v[199:200], -0.5, v[32:33]
	v_fma_f64 v[201:202], v[201:202], -0.5, v[32:33]
	v_add_f64 v[32:33], v[32:33], v[50:51]
	v_add_f64 v[36:37], v[66:67], -v[68:69]
	v_add_f64 v[149:150], v[62:63], -v[68:69]
	;; [unrolled: 1-line block ×7, first 2 shown]
	v_fma_f64 v[157:158], v[157:158], -0.5, v[195:196]
	v_fma_f64 v[159:160], v[159:160], -0.5, v[195:196]
	v_add_f64 v[195:196], v[90:91], v[195:196]
	v_add_f64 v[98:99], v[64:65], -v[54:55]
	v_fma_f64 v[177:178], v[177:178], -0.5, v[34:35]
	v_fma_f64 v[191:192], v[191:192], -0.5, v[34:35]
	v_add_f64 v[34:35], v[106:107], v[181:182]
	v_fma_f64 v[207:208], v[207:208], -0.5, v[181:182]
	v_fma_f64 v[181:182], v[209:210], -0.5, v[181:182]
	;; [unrolled: 1-line block ×4, first 2 shown]
	v_add_f64 v[217:218], v[58:59], -v[60:61]
	v_add_f64 v[26:27], v[26:27], v[30:31]
	v_add_f64 v[30:31], v[108:109], -v[90:91]
	v_add_f64 v[92:93], v[48:49], v[92:93]
	;; [unrolled: 2-line block ×3, first 2 shown]
	v_add_f64 v[233:234], v[94:95], v[233:234]
	v_add_f64 v[8:9], v[8:9], v[62:63]
	;; [unrolled: 1-line block ×7, first 2 shown]
	v_add_f64 v[149:150], v[90:91], -v[108:109]
	v_add_f64 v[161:162], v[161:162], v[163:164]
	v_add_f64 v[163:164], v[76:77], -v[56:57]
	v_add_f64 v[169:170], v[169:170], v[175:176]
	;; [unrolled: 2-line block ×3, first 2 shown]
	v_add_f64 v[195:196], v[108:109], v[195:196]
	v_add_f64 v[237:238], v[78:79], -v[70:71]
	v_add_f64 v[239:240], v[54:55], -v[60:61]
	v_add_f64 v[94:95], v[94:95], -v[72:73]
	v_add_f64 v[203:204], v[203:204], v[205:206]
	v_add_f64 v[54:55], v[50:51], -v[52:53]
	v_add_f64 v[205:206], v[104:105], -v[46:47]
	v_add_f64 v[98:99], v[98:99], v[217:218]
	v_add_f64 v[217:218], v[88:89], -v[106:107]
	v_add_f64 v[241:242], v[30:31], v[48:49]
	;; [unrolled: 2-line block ×3, first 2 shown]
	v_add_f64 v[60:61], v[167:168], v[60:61]
	v_add_f64 v[167:168], v[22:23], v[131:132]
	;; [unrolled: 1-line block ×4, first 2 shown]
	v_add_f64 v[8:9], v[64:65], -v[58:59]
	v_fma_f64 v[64:65], v[66:67], -0.5, v[12:13]
	v_add_f64 v[68:69], v[50:51], -v[104:105]
	v_add_f64 v[70:71], v[52:53], -v[46:47]
	v_add_f64 v[50:51], v[235:236], v[46:47]
	v_add_f64 v[52:53], v[131:132], -v[38:39]
	v_fma_f64 v[74:75], v[96:97], -0.5, v[171:172]
	v_fma_f64 v[12:13], v[165:166], -0.5, v[12:13]
	v_add_f64 v[165:166], v[42:43], -v[44:45]
	v_add_f64 v[80:81], v[46:47], -v[104:105]
	v_add_f64 v[108:109], v[108:109], -v[56:57]
	v_add_f64 v[149:150], v[149:150], v[163:164]
	v_add_f64 v[163:164], v[106:107], -v[88:89]
	v_add_f64 v[233:234], v[38:39], -v[131:132]
	v_add_f64 v[56:57], v[56:57], v[195:196]
	v_add_f64 v[195:196], v[44:45], -v[42:43]
	v_fma_f64 v[62:63], v[62:63], -0.5, v[171:172]
	v_add_f64 v[66:67], v[247:248], -v[110:111]
	v_add_f64 v[96:97], v[54:55], v[205:206]
	v_add_f64 v[171:172], v[217:218], v[48:49]
	v_add_f64 v[205:206], v[38:39], -v[44:45]
	v_add_f64 v[34:35], v[88:89], v[34:35]
	v_add_f64 v[167:168], v[38:39], v[167:168]
	;; [unrolled: 1-line block ×4, first 2 shown]
	v_fma_f64 v[60:61], v[151:152], s[6:7], v[64:65]
	v_add_f64 v[72:73], v[88:89], -v[125:126]
	v_add_f64 v[88:89], v[38:39], v[44:45]
	v_fma_f64 v[38:39], v[151:152], s[14:15], v[64:65]
	v_add_f64 v[54:55], v[50:51], v[104:105]
	v_fma_f64 v[50:51], v[36:37], s[6:7], v[74:75]
	v_fma_f64 v[64:65], v[237:238], s[14:15], v[12:13]
	v_add_f64 v[110:111], v[52:53], v[165:166]
	v_fma_f64 v[52:53], v[36:37], s[14:15], v[74:75]
	v_fma_f64 v[12:13], v[237:238], s[6:7], v[12:13]
	v_add_f64 v[90:91], v[90:91], -v[76:77]
	v_add_f64 v[217:218], v[133:134], -v[82:83]
	v_add_f64 v[195:196], v[233:234], v[195:196]
	v_add_f64 v[233:234], v[135:136], -v[137:138]
	v_fma_f64 v[58:59], v[40:41], s[14:15], v[62:63]
	v_fma_f64 v[62:63], v[40:41], s[6:7], v[62:63]
	v_add_f64 v[56:57], v[76:77], v[56:57]
	v_add_f64 v[74:75], v[82:83], -v[133:134]
	v_add_f64 v[34:35], v[125:126], v[34:35]
	v_add_f64 v[76:77], v[137:138], -v[135:136]
	v_add_f64 v[44:45], v[167:168], v[44:45]
	v_add_f64 v[104:105], v[131:132], v[42:43]
	v_fma_f64 v[60:61], v[237:238], s[12:13], v[60:61]
	v_add_f64 v[175:176], v[175:176], v[80:81]
	ds_read2_b64 v[78:81], v251 offset0:4 offset1:59
	v_fma_f64 v[38:39], v[237:238], s[4:5], v[38:39]
	v_add_f64 v[179:180], v[82:83], v[179:180]
	v_fma_f64 v[50:51], v[40:41], s[4:5], v[50:51]
	v_fma_f64 v[64:65], v[151:152], s[12:13], v[64:65]
	v_add_f64 v[243:244], v[127:128], -v[125:126]
	v_fma_f64 v[52:53], v[40:41], s[12:13], v[52:53]
	v_fma_f64 v[12:13], v[151:152], s[4:5], v[12:13]
	v_add_f64 v[106:107], v[106:107], -v[127:128]
	s_waitcnt vmcnt(7)
	v_mul_f64 v[187:188], v[100:101], v[211:212]
	v_mul_f64 v[193:194], v[102:103], v[211:212]
	v_add_f64 v[165:166], v[217:218], v[233:234]
	v_fma_f64 v[58:59], v[36:37], s[4:5], v[58:59]
	v_fma_f64 v[62:63], v[36:37], s[12:13], v[62:63]
	s_waitcnt vmcnt(6)
	v_mul_f64 v[211:212], v[112:113], v[215:216]
	s_waitcnt vmcnt(5) lgkmcnt(1)
	v_mul_f64 v[125:126], v[120:121], v[221:222]
	v_add_f64 v[151:152], v[143:144], -v[145:146]
	v_add_f64 v[233:234], v[74:75], v[76:77]
	v_add_f64 v[76:77], v[127:128], v[34:35]
	v_fma_f64 v[104:105], v[104:105], -0.5, v[22:23]
	s_waitcnt vmcnt(4) lgkmcnt(0)
	v_mul_f64 v[167:168], v[116:117], v[80:81]
	v_mul_f64 v[217:218], v[118:119], v[80:81]
	v_add_f64 v[80:81], v[131:132], -v[42:43]
	v_add_f64 v[74:75], v[44:45], v[42:43]
	v_fma_f64 v[127:128], v[239:240], s[14:15], v[153:154]
	v_fma_f64 v[153:154], v[239:240], s[6:7], v[153:154]
	;; [unrolled: 1-line block ×9, first 2 shown]
	v_fma_f64 v[22:23], v[88:89], -0.5, v[22:23]
	v_fma_f64 v[52:53], v[92:93], s[10:11], v[52:53]
	v_fma_f64 v[50:51], v[161:162], s[10:11], v[12:13]
	;; [unrolled: 1-line block ×11, first 2 shown]
	v_add_f64 v[155:156], v[133:134], v[179:180]
	v_fma_f64 v[127:128], v[8:9], s[4:5], v[127:128]
	v_fma_f64 v[8:9], v[8:9], s[12:13], v[153:154]
	v_fma_f64 v[153:154], v[108:109], s[6:7], v[199:200]
	v_fma_f64 v[159:160], v[108:109], s[14:15], v[199:200]
	v_fma_f64 v[161:162], v[239:240], s[12:13], v[60:61]
	v_fma_f64 v[60:61], v[90:91], s[14:15], v[201:202]
	v_fma_f64 v[177:178], v[90:91], s[6:7], v[201:202]
	v_fma_f64 v[191:192], v[94:95], s[12:13], v[64:65]
	v_fma_f64 v[94:95], v[94:95], s[4:5], v[147:148]
	v_fma_f64 v[64:65], v[80:81], s[6:7], v[181:182]
	v_fma_f64 v[147:148], v[80:81], s[14:15], v[181:182]
	v_add_f64 v[181:182], v[133:134], -v[135:136]
	v_mul_f64 v[215:216], v[114:115], v[215:216]
	v_add_f64 v[163:164], v[163:164], v[243:244]
	v_fma_f64 v[92:93], v[70:71], s[4:5], v[92:93]
	v_fma_f64 v[133:134], v[70:71], s[12:13], v[157:158]
	v_fma_f64 v[70:71], v[106:107], s[14:15], v[22:23]
	v_fma_f64 v[22:23], v[106:107], s[6:7], v[22:23]
	v_add_f64 v[131:132], v[139:140], -v[141:142]
	v_add_f64 v[235:236], v[139:140], v[141:142]
	v_fma_f64 v[58:59], v[239:240], s[4:5], v[58:59]
	v_fma_f64 v[26:27], v[66:67], s[12:13], v[26:27]
	;; [unrolled: 1-line block ×7, first 2 shown]
	v_add_f64 v[90:91], v[143:144], v[145:146]
	v_fma_f64 v[159:160], v[108:109], s[12:13], v[60:61]
	v_fma_f64 v[108:109], v[108:109], s[4:5], v[177:178]
	v_fma_f64 v[60:61], v[151:152], s[14:15], v[209:210]
	v_fma_f64 v[177:178], v[151:152], s[6:7], v[209:210]
	v_fma_f64 v[207:208], v[205:206], s[4:5], v[64:65]
	v_fma_f64 v[147:148], v[205:206], s[12:13], v[147:148]
	v_mul_f64 v[205:206], v[122:123], v[221:222]
	v_fma_f64 v[122:123], v[6:7], v[122:123], v[125:126]
	v_fma_f64 v[187:188], v[24:25], v[102:103], v[187:188]
	;; [unrolled: 1-line block ×10, first 2 shown]
	v_fma_f64 v[199:200], v[235:236], -0.5, v[20:21]
	v_fma_f64 v[201:202], v[80:81], s[4:5], v[62:63]
	v_fma_f64 v[179:180], v[80:81], s[12:13], v[179:180]
	;; [unrolled: 1-line block ×3, first 2 shown]
	v_add_f64 v[167:168], v[143:144], -v[139:140]
	v_add_f64 v[209:210], v[145:146], -v[141:142]
	;; [unrolled: 1-line block ×3, first 2 shown]
	v_fma_f64 v[221:222], v[90:91], -0.5, v[20:21]
	v_fma_f64 v[213:214], v[131:132], s[14:15], v[213:214]
	v_fma_f64 v[235:236], v[131:132], s[4:5], v[60:61]
	;; [unrolled: 1-line block ×10, first 2 shown]
	v_add_f64 v[22:23], v[187:188], v[118:119]
	v_fma_f64 v[110:111], v[6:7], v[120:121], -v[205:206]
	v_fma_f64 v[147:148], v[28:29], v[112:113], -v[215:216]
	;; [unrolled: 1-line block ×4, first 2 shown]
	v_add_f64 v[6:7], v[122:123], v[114:115]
	v_fma_f64 v[62:63], v[197:198], s[10:11], v[26:27]
	ds_read2_b64 v[26:29], v255 offset1:55
	v_fma_f64 v[102:103], v[106:107], s[12:13], v[68:69]
	v_fma_f64 v[106:107], v[106:107], s[4:5], v[104:105]
	;; [unrolled: 1-line block ×19, first 2 shown]
	s_waitcnt vmcnt(3)
	v_mul_f64 v[112:113], v[84:85], v[173:174]
	s_waitcnt vmcnt(2)
	v_mul_f64 v[116:117], v[183:184], v[78:79]
	v_fma_f64 v[120:121], v[181:182], s[14:15], v[199:200]
	v_add_f64 v[149:150], v[139:140], -v[143:144]
	v_add_f64 v[153:154], v[141:142], -v[145:146]
	s_waitcnt vmcnt(0)
	v_mul_f64 v[157:158], v[229:230], v[219:220]
	v_mul_f64 v[159:160], v[225:226], v[189:190]
	v_fma_f64 v[161:162], v[211:212], s[14:15], v[221:222]
	v_fma_f64 v[163:164], v[211:212], s[6:7], v[221:222]
	v_mul_f64 v[165:166], v[86:87], v[173:174]
	v_mul_f64 v[78:79], v[185:186], v[78:79]
	v_add_f64 v[20:21], v[20:21], v[139:140]
	v_fma_f64 v[139:140], v[151:152], s[12:13], v[213:214]
	v_mul_f64 v[169:170], v[227:228], v[189:190]
	s_waitcnt lgkmcnt(0)
	v_fma_f64 v[22:23], v[22:23], -0.5, v[28:29]
	v_add_f64 v[171:172], v[110:111], -v[147:148]
	v_add_f64 v[135:136], v[135:136], v[155:156]
	v_add_f64 v[155:156], v[167:168], v[209:210]
	v_add_f64 v[167:168], v[24:25], -v[100:101]
	v_fma_f64 v[6:7], v[6:7], -0.5, v[28:29]
	v_add_f64 v[28:29], v[187:188], v[28:29]
	v_add_f64 v[175:176], v[110:111], v[147:148]
	v_fma_f64 v[86:87], v[14:15], v[86:87], v[112:113]
	v_fma_f64 v[173:174], v[16:17], v[185:186], v[116:117]
	;; [unrolled: 1-line block ×4, first 2 shown]
	v_add_f64 v[120:121], v[149:150], v[153:154]
	v_fma_f64 v[149:150], v[4:5], v[231:232], v[157:158]
	v_fma_f64 v[153:154], v[10:11], v[227:228], v[159:160]
	;; [unrolled: 1-line block ×4, first 2 shown]
	v_fma_f64 v[14:15], v[14:15], v[84:85], -v[165:166]
	v_fma_f64 v[78:79], v[16:17], v[183:184], -v[78:79]
	v_add_f64 v[84:85], v[24:25], v[100:101]
	v_add_f64 v[143:144], v[143:144], v[20:21]
	v_add_f64 v[161:162], v[122:123], -v[187:188]
	v_fma_f64 v[163:164], v[10:11], v[225:226], -v[169:170]
	v_add_f64 v[165:166], v[114:115], -v[118:119]
	v_fma_f64 v[169:170], v[171:172], s[14:15], v[22:23]
	v_fma_f64 v[177:178], v[171:172], s[6:7], v[22:23]
	;; [unrolled: 1-line block ×5, first 2 shown]
	v_add_f64 v[28:29], v[122:123], v[28:29]
	v_add_f64 v[181:182], v[118:119], -v[114:115]
	v_mul_f64 v[151:152], v[231:232], v[219:220]
	v_fma_f64 v[6:7], v[155:156], s[10:11], v[112:113]
	v_fma_f64 v[10:11], v[155:156], s[10:11], v[116:117]
	v_fma_f64 v[155:156], v[175:176], -0.5, v[2:3]
	v_add_f64 v[175:176], v[147:148], -v[100:101]
	v_add_f64 v[116:117], v[122:123], -v[114:115]
	v_fma_f64 v[16:17], v[120:121], s[10:11], v[157:158]
	v_fma_f64 v[20:21], v[120:121], s[10:11], v[159:160]
	v_add_f64 v[179:180], v[187:188], -v[122:123]
	v_add_f64 v[185:186], v[86:87], v[173:174]
	v_fma_f64 v[84:85], v[84:85], -0.5, v[2:3]
	v_add_f64 v[120:121], v[143:144], v[145:146]
	v_add_f64 v[2:3], v[2:3], v[24:25]
	v_add_f64 v[145:146], v[187:188], -v[118:119]
	v_add_f64 v[143:144], v[161:162], v[165:166]
	v_add_f64 v[112:113], v[14:15], v[78:79]
	v_fma_f64 v[157:158], v[167:168], s[4:5], v[169:170]
	v_fma_f64 v[159:160], v[167:168], s[12:13], v[177:178]
	;; [unrolled: 1-line block ×4, first 2 shown]
	v_add_f64 v[171:172], v[110:111], -v[24:25]
	v_add_f64 v[28:29], v[114:115], v[28:29]
	v_fma_f64 v[151:152], v[4:5], v[229:230], -v[151:152]
	v_add_f64 v[4:5], v[137:138], v[135:136]
	v_add_f64 v[135:136], v[149:150], v[153:154]
	v_add_f64 v[122:123], v[14:15], -v[78:79]
	v_add_f64 v[177:178], v[149:150], -v[153:154]
	;; [unrolled: 1-line block ×5, first 2 shown]
	v_add_f64 v[161:162], v[179:180], v[181:182]
	v_fma_f64 v[167:168], v[185:186], -0.5, v[26:27]
	v_add_f64 v[181:182], v[86:87], -v[173:174]
	v_fma_f64 v[179:180], v[116:117], s[6:7], v[84:85]
	v_add_f64 v[201:202], v[78:79], -v[163:164]
	v_fma_f64 v[84:85], v[116:117], s[14:15], v[84:85]
	v_add_f64 v[185:186], v[100:101], -v[147:148]
	v_fma_f64 v[112:113], v[112:113], -0.5, v[0:1]
	v_fma_f64 v[187:188], v[145:146], s[14:15], v[155:156]
	v_fma_f64 v[102:103], v[195:196], s[10:11], v[102:103]
	;; [unrolled: 1-line block ×3, first 2 shown]
	v_add_f64 v[193:194], v[173:174], -v[153:154]
	v_add_f64 v[114:115], v[171:172], v[175:176]
	v_add_f64 v[175:176], v[110:111], v[2:3]
	;; [unrolled: 1-line block ×4, first 2 shown]
	s_clause 0x1
	buffer_load_dword v118, off, s[36:39], 0
	buffer_load_dword v119, off, s[36:39], 0 offset:4
	v_add_f64 v[137:138], v[151:152], v[163:164]
	v_fma_f64 v[135:136], v[135:136], -0.5, v[26:27]
	v_add_f64 v[26:27], v[86:87], v[26:27]
	v_add_f64 v[169:170], v[151:152], -v[163:164]
	v_add_f64 v[86:87], v[86:87], -v[149:150]
	v_fma_f64 v[66:67], v[197:198], s[10:11], v[66:67]
	v_fma_f64 v[155:156], v[145:146], s[6:7], v[155:156]
	v_add_f64 v[197:198], v[163:164], -v[78:79]
	v_fma_f64 v[171:172], v[145:146], s[12:13], v[179:180]
	v_add_f64 v[179:180], v[24:25], v[189:190]
	v_fma_f64 v[84:85], v[145:146], s[4:5], v[84:85]
	v_add_f64 v[145:146], v[183:184], v[185:186]
	v_fma_f64 v[199:200], v[177:178], s[6:7], v[112:113]
	v_fma_f64 v[112:113], v[177:178], s[14:15], v[112:113]
	v_mov_b32_e32 v225, v124
	v_fma_f64 v[18:19], v[233:234], s[10:11], v[239:240]
	v_add_f64 v[28:29], v[175:176], v[147:148]
	v_fma_f64 v[137:138], v[137:138], -0.5, v[0:1]
	v_add_f64 v[0:1], v[0:1], v[14:15]
	v_add_f64 v[26:27], v[149:150], v[26:27]
	v_add_f64 v[149:150], v[151:152], -v[14:15]
	v_add_f64 v[14:15], v[14:15], -v[151:152]
	v_fma_f64 v[191:192], v[169:170], s[14:15], v[167:168]
	v_fma_f64 v[167:168], v[169:170], s[6:7], v[167:168]
	;; [unrolled: 1-line block ×9, first 2 shown]
	v_add_f64 v[0:1], v[151:152], v[0:1]
	v_fma_f64 v[151:152], v[116:117], s[12:13], v[187:188]
	v_add_f64 v[14:15], v[14:15], v[201:202]
	v_fma_f64 v[183:184], v[122:123], s[4:5], v[191:192]
	v_fma_f64 v[122:123], v[122:123], s[12:13], v[167:168]
	v_add_f64 v[153:154], v[153:154], v[26:27]
	v_add_f64 v[167:168], v[86:87], v[193:194]
	v_fma_f64 v[135:136], v[169:170], s[12:13], v[135:136]
	v_fma_f64 v[185:186], v[169:170], s[4:5], v[195:196]
	v_add_f64 v[169:170], v[149:150], v[197:198]
	v_fma_f64 v[187:188], v[181:182], s[12:13], v[199:200]
	v_fma_f64 v[181:182], v[181:182], s[4:5], v[112:113]
	;; [unrolled: 1-line block ×9, first 2 shown]
	v_add_f64 v[0:1], v[0:1], v[163:164]
	v_fma_f64 v[110:111], v[145:146], s[10:11], v[151:152]
	v_fma_f64 v[137:138], v[179:180], s[10:11], v[183:184]
	;; [unrolled: 1-line block ×3, first 2 shown]
	v_add_f64 v[153:154], v[173:174], v[153:154]
	v_fma_f64 v[149:150], v[167:168], s[10:11], v[135:136]
	v_fma_f64 v[145:146], v[167:168], s[10:11], v[185:186]
	;; [unrolled: 1-line block ×6, first 2 shown]
	v_lshlrev_b64 v[14:15], 4, v[224:225]
	v_add_f64 v[151:152], v[0:1], v[78:79]
	s_waitcnt vmcnt(1)
	v_add_co_u32 v122, vcc_lo, s2, v118
	s_waitcnt vmcnt(0)
	v_add_co_ci_u32_e32 v155, vcc_lo, s3, v119, vcc_lo
	v_add_f64 v[118:119], v[28:29], v[100:101]
	v_add_co_u32 v0, vcc_lo, v122, v14
	v_add_co_ci_u32_e32 v1, vcc_lo, v155, v15, vcc_lo
	v_add_co_u32 v14, vcc_lo, 0x1800, v0
	v_add_co_ci_u32_e32 v15, vcc_lo, 0, v1, vcc_lo
	;; [unrolled: 2-line block ×5, first 2 shown]
	global_store_dwordx4 v[0:1], v[151:154], off
	global_store_dwordx4 v[14:15], v[147:150], off offset:16
	global_store_dwordx4 v[28:29], v[139:142], off offset:32
	;; [unrolled: 1-line block ×14, first 2 shown]
	v_mul_hi_u32 v8, 0x551c979b, v129
	v_add_co_u32 v2, vcc_lo, 0x800, v0
	v_add_co_ci_u32_e32 v3, vcc_lo, 0, v1, vcc_lo
	v_add_co_u32 v4, vcc_lo, 0x2000, v0
	v_add_co_ci_u32_e32 v5, vcc_lo, 0, v1, vcc_lo
	v_lshrrev_b32_e32 v10, 7, v8
	v_add_co_u32 v6, vcc_lo, 0x3800, v0
	v_add_co_ci_u32_e32 v7, vcc_lo, 0, v1, vcc_lo
	v_mad_u32_u24 v123, 0x604, v10, v129
	v_add_co_u32 v8, vcc_lo, 0x5000, v0
	v_add_co_ci_u32_e32 v9, vcc_lo, 0, v1, vcc_lo
	global_store_dwordx4 v[2:3], v[74:77], off offset:592
	global_store_dwordx4 v[4:5], v[131:134], off offset:608
	;; [unrolled: 1-line block ×4, first 2 shown]
	v_lshlrev_b64 v[2:3], 4, v[123:124]
	v_add_co_u32 v4, vcc_lo, 0x6800, v0
	v_add_co_ci_u32_e32 v5, vcc_lo, 0, v1, vcc_lo
	v_add_co_u32 v2, vcc_lo, v122, v2
	v_add_co_ci_u32_e32 v3, vcc_lo, v155, v3, vcc_lo
	global_store_dwordx4 v[4:5], v[125:128], off offset:656
	v_add_co_u32 v4, vcc_lo, 0x1800, v2
	v_add_co_ci_u32_e32 v5, vcc_lo, 0, v3, vcc_lo
	v_add_co_u32 v6, vcc_lo, 0x3000, v2
	v_add_co_ci_u32_e32 v7, vcc_lo, 0, v3, vcc_lo
	;; [unrolled: 2-line block ×4, first 2 shown]
	global_store_dwordx4 v[2:3], v[54:57], off
	global_store_dwordx4 v[4:5], v[96:99], off offset:16
	global_store_dwordx4 v[6:7], v[88:91], off offset:32
	;; [unrolled: 1-line block ×4, first 2 shown]
	v_mul_hi_u32 v8, 0x551c979b, v130
	v_add_co_u32 v2, vcc_lo, 0x1000, v0
	v_add_co_ci_u32_e32 v3, vcc_lo, 0, v1, vcc_lo
	v_add_co_u32 v4, vcc_lo, 0x2800, v0
	v_add_co_ci_u32_e32 v5, vcc_lo, 0, v1, vcc_lo
	v_lshrrev_b32_e32 v10, 7, v8
	v_add_co_u32 v6, vcc_lo, 0x4000, v0
	v_add_co_ci_u32_e32 v7, vcc_lo, 0, v1, vcc_lo
	v_mad_u32_u24 v123, 0x604, v10, v130
	v_add_co_u32 v8, vcc_lo, 0x5800, v0
	v_add_co_ci_u32_e32 v9, vcc_lo, 0, v1, vcc_lo
	global_store_dwordx4 v[2:3], v[46:49], off offset:304
	global_store_dwordx4 v[4:5], v[70:73], off offset:320
	;; [unrolled: 1-line block ×4, first 2 shown]
	v_lshlrev_b64 v[2:3], 4, v[123:124]
	v_add_co_u32 v0, vcc_lo, 0x7000, v0
	v_add_co_ci_u32_e32 v1, vcc_lo, 0, v1, vcc_lo
	v_add_co_u32 v2, vcc_lo, v122, v2
	v_add_co_ci_u32_e32 v3, vcc_lo, v155, v3, vcc_lo
	global_store_dwordx4 v[0:1], v[58:61], off offset:368
	v_add_co_u32 v0, vcc_lo, 0x1800, v2
	v_add_co_ci_u32_e32 v1, vcc_lo, 0, v3, vcc_lo
	v_add_co_u32 v4, vcc_lo, 0x3000, v2
	v_add_co_ci_u32_e32 v5, vcc_lo, 0, v3, vcc_lo
	;; [unrolled: 2-line block ×4, first 2 shown]
	global_store_dwordx4 v[2:3], v[30:33], off
	global_store_dwordx4 v[0:1], v[50:53], off offset:16
	global_store_dwordx4 v[4:5], v[42:45], off offset:32
	;; [unrolled: 1-line block ×4, first 2 shown]
.LBB0_21:
	s_endpgm
	.section	.rodata,"a",@progbits
	.p2align	6, 0x0
	.amdhsa_kernel fft_rtc_fwd_len1925_factors_7_11_5_5_wgs_55_tpt_55_halfLds_dp_ip_CI_unitstride_sbrr_dirReg
		.amdhsa_group_segment_fixed_size 0
		.amdhsa_private_segment_fixed_size 300
		.amdhsa_kernarg_size 88
		.amdhsa_user_sgpr_count 6
		.amdhsa_user_sgpr_private_segment_buffer 1
		.amdhsa_user_sgpr_dispatch_ptr 0
		.amdhsa_user_sgpr_queue_ptr 0
		.amdhsa_user_sgpr_kernarg_segment_ptr 1
		.amdhsa_user_sgpr_dispatch_id 0
		.amdhsa_user_sgpr_flat_scratch_init 0
		.amdhsa_user_sgpr_private_segment_size 0
		.amdhsa_wavefront_size32 1
		.amdhsa_uses_dynamic_stack 0
		.amdhsa_system_sgpr_private_segment_wavefront_offset 1
		.amdhsa_system_sgpr_workgroup_id_x 1
		.amdhsa_system_sgpr_workgroup_id_y 0
		.amdhsa_system_sgpr_workgroup_id_z 0
		.amdhsa_system_sgpr_workgroup_info 0
		.amdhsa_system_vgpr_workitem_id 0
		.amdhsa_next_free_vgpr 256
		.amdhsa_next_free_sgpr 40
		.amdhsa_reserve_vcc 1
		.amdhsa_reserve_flat_scratch 0
		.amdhsa_float_round_mode_32 0
		.amdhsa_float_round_mode_16_64 0
		.amdhsa_float_denorm_mode_32 3
		.amdhsa_float_denorm_mode_16_64 3
		.amdhsa_dx10_clamp 1
		.amdhsa_ieee_mode 1
		.amdhsa_fp16_overflow 0
		.amdhsa_workgroup_processor_mode 1
		.amdhsa_memory_ordered 1
		.amdhsa_forward_progress 0
		.amdhsa_shared_vgpr_count 0
		.amdhsa_exception_fp_ieee_invalid_op 0
		.amdhsa_exception_fp_denorm_src 0
		.amdhsa_exception_fp_ieee_div_zero 0
		.amdhsa_exception_fp_ieee_overflow 0
		.amdhsa_exception_fp_ieee_underflow 0
		.amdhsa_exception_fp_ieee_inexact 0
		.amdhsa_exception_int_div_zero 0
	.end_amdhsa_kernel
	.text
.Lfunc_end0:
	.size	fft_rtc_fwd_len1925_factors_7_11_5_5_wgs_55_tpt_55_halfLds_dp_ip_CI_unitstride_sbrr_dirReg, .Lfunc_end0-fft_rtc_fwd_len1925_factors_7_11_5_5_wgs_55_tpt_55_halfLds_dp_ip_CI_unitstride_sbrr_dirReg
                                        ; -- End function
	.section	.AMDGPU.csdata,"",@progbits
; Kernel info:
; codeLenInByte = 32080
; NumSgprs: 42
; NumVgprs: 256
; ScratchSize: 300
; MemoryBound: 1
; FloatMode: 240
; IeeeMode: 1
; LDSByteSize: 0 bytes/workgroup (compile time only)
; SGPRBlocks: 5
; VGPRBlocks: 31
; NumSGPRsForWavesPerEU: 42
; NumVGPRsForWavesPerEU: 256
; Occupancy: 4
; WaveLimiterHint : 1
; COMPUTE_PGM_RSRC2:SCRATCH_EN: 1
; COMPUTE_PGM_RSRC2:USER_SGPR: 6
; COMPUTE_PGM_RSRC2:TRAP_HANDLER: 0
; COMPUTE_PGM_RSRC2:TGID_X_EN: 1
; COMPUTE_PGM_RSRC2:TGID_Y_EN: 0
; COMPUTE_PGM_RSRC2:TGID_Z_EN: 0
; COMPUTE_PGM_RSRC2:TIDIG_COMP_CNT: 0
	.text
	.p2alignl 6, 3214868480
	.fill 48, 4, 3214868480
	.type	__hip_cuid_b900e95a0361cfcd,@object ; @__hip_cuid_b900e95a0361cfcd
	.section	.bss,"aw",@nobits
	.globl	__hip_cuid_b900e95a0361cfcd
__hip_cuid_b900e95a0361cfcd:
	.byte	0                               ; 0x0
	.size	__hip_cuid_b900e95a0361cfcd, 1

	.ident	"AMD clang version 19.0.0git (https://github.com/RadeonOpenCompute/llvm-project roc-6.4.0 25133 c7fe45cf4b819c5991fe208aaa96edf142730f1d)"
	.section	".note.GNU-stack","",@progbits
	.addrsig
	.addrsig_sym __hip_cuid_b900e95a0361cfcd
	.amdgpu_metadata
---
amdhsa.kernels:
  - .args:
      - .actual_access:  read_only
        .address_space:  global
        .offset:         0
        .size:           8
        .value_kind:     global_buffer
      - .offset:         8
        .size:           8
        .value_kind:     by_value
      - .actual_access:  read_only
        .address_space:  global
        .offset:         16
        .size:           8
        .value_kind:     global_buffer
      - .actual_access:  read_only
        .address_space:  global
        .offset:         24
        .size:           8
        .value_kind:     global_buffer
      - .offset:         32
        .size:           8
        .value_kind:     by_value
      - .actual_access:  read_only
        .address_space:  global
        .offset:         40
        .size:           8
        .value_kind:     global_buffer
      - .actual_access:  read_only
        .address_space:  global
        .offset:         48
        .size:           8
        .value_kind:     global_buffer
      - .offset:         56
        .size:           4
        .value_kind:     by_value
      - .actual_access:  read_only
        .address_space:  global
        .offset:         64
        .size:           8
        .value_kind:     global_buffer
      - .actual_access:  read_only
        .address_space:  global
        .offset:         72
        .size:           8
        .value_kind:     global_buffer
      - .address_space:  global
        .offset:         80
        .size:           8
        .value_kind:     global_buffer
    .group_segment_fixed_size: 0
    .kernarg_segment_align: 8
    .kernarg_segment_size: 88
    .language:       OpenCL C
    .language_version:
      - 2
      - 0
    .max_flat_workgroup_size: 55
    .name:           fft_rtc_fwd_len1925_factors_7_11_5_5_wgs_55_tpt_55_halfLds_dp_ip_CI_unitstride_sbrr_dirReg
    .private_segment_fixed_size: 300
    .sgpr_count:     42
    .sgpr_spill_count: 0
    .symbol:         fft_rtc_fwd_len1925_factors_7_11_5_5_wgs_55_tpt_55_halfLds_dp_ip_CI_unitstride_sbrr_dirReg.kd
    .uniform_work_group_size: 1
    .uses_dynamic_stack: false
    .vgpr_count:     256
    .vgpr_spill_count: 74
    .wavefront_size: 32
    .workgroup_processor_mode: 1
amdhsa.target:   amdgcn-amd-amdhsa--gfx1030
amdhsa.version:
  - 1
  - 2
...

	.end_amdgpu_metadata
